;; amdgpu-corpus repo=ROCm/rocFFT kind=compiled arch=gfx1030 opt=O3
	.text
	.amdgcn_target "amdgcn-amd-amdhsa--gfx1030"
	.amdhsa_code_object_version 6
	.protected	fft_rtc_back_len182_factors_13_2_7_wgs_52_tpt_13_half_op_CI_CI_sbrr_dirReg ; -- Begin function fft_rtc_back_len182_factors_13_2_7_wgs_52_tpt_13_half_op_CI_CI_sbrr_dirReg
	.globl	fft_rtc_back_len182_factors_13_2_7_wgs_52_tpt_13_half_op_CI_CI_sbrr_dirReg
	.p2align	8
	.type	fft_rtc_back_len182_factors_13_2_7_wgs_52_tpt_13_half_op_CI_CI_sbrr_dirReg,@function
fft_rtc_back_len182_factors_13_2_7_wgs_52_tpt_13_half_op_CI_CI_sbrr_dirReg: ; @fft_rtc_back_len182_factors_13_2_7_wgs_52_tpt_13_half_op_CI_CI_sbrr_dirReg
; %bb.0:
	s_clause 0x2
	s_load_dwordx4 s[16:19], s[4:5], 0x18
	s_load_dwordx4 s[12:15], s[4:5], 0x0
	;; [unrolled: 1-line block ×3, first 2 shown]
	v_mul_u32_u24_e32 v1, 0x13b2, v0
	v_mov_b32_e32 v8, 0
	v_mov_b32_e32 v6, 0
	;; [unrolled: 1-line block ×3, first 2 shown]
	s_waitcnt lgkmcnt(0)
	s_load_dwordx2 s[20:21], s[16:17], 0x0
	s_load_dwordx2 s[2:3], s[18:19], 0x0
	v_lshrrev_b32_e32 v12, 16, v1
	v_cmp_lt_u64_e64 s0, s[14:15], 2
	v_mov_b32_e32 v11, v8
	v_lshl_add_u32 v10, s6, 2, v12
	s_and_b32 vcc_lo, exec_lo, s0
	s_cbranch_vccnz .LBB0_8
; %bb.1:
	s_load_dwordx2 s[0:1], s[4:5], 0x10
	v_mov_b32_e32 v6, 0
	v_mov_b32_e32 v7, 0
	s_add_u32 s6, s18, 8
	s_addc_u32 s7, s19, 0
	v_mov_b32_e32 v1, v6
	s_add_u32 s22, s16, 8
	v_mov_b32_e32 v2, v7
	s_addc_u32 s23, s17, 0
	s_mov_b64 s[26:27], 1
	s_waitcnt lgkmcnt(0)
	s_add_u32 s24, s0, 8
	s_addc_u32 s25, s1, 0
.LBB0_2:                                ; =>This Inner Loop Header: Depth=1
	s_load_dwordx2 s[28:29], s[24:25], 0x0
                                        ; implicit-def: $vgpr3_vgpr4
	s_mov_b32 s0, exec_lo
	s_waitcnt lgkmcnt(0)
	v_or_b32_e32 v9, s29, v11
	v_cmpx_ne_u64_e32 0, v[8:9]
	s_xor_b32 s1, exec_lo, s0
	s_cbranch_execz .LBB0_4
; %bb.3:                                ;   in Loop: Header=BB0_2 Depth=1
	v_cvt_f32_u32_e32 v3, s28
	v_cvt_f32_u32_e32 v4, s29
	s_sub_u32 s0, 0, s28
	s_subb_u32 s30, 0, s29
	v_fmac_f32_e32 v3, 0x4f800000, v4
	v_rcp_f32_e32 v3, v3
	v_mul_f32_e32 v3, 0x5f7ffffc, v3
	v_mul_f32_e32 v4, 0x2f800000, v3
	v_trunc_f32_e32 v4, v4
	v_fmac_f32_e32 v3, 0xcf800000, v4
	v_cvt_u32_f32_e32 v4, v4
	v_cvt_u32_f32_e32 v3, v3
	v_mul_lo_u32 v5, s0, v4
	v_mul_hi_u32 v9, s0, v3
	v_mul_lo_u32 v13, s30, v3
	v_add_nc_u32_e32 v5, v9, v5
	v_mul_lo_u32 v9, s0, v3
	v_add_nc_u32_e32 v5, v5, v13
	v_mul_hi_u32 v13, v3, v9
	v_mul_lo_u32 v14, v3, v5
	v_mul_hi_u32 v15, v3, v5
	v_mul_hi_u32 v16, v4, v9
	v_mul_lo_u32 v9, v4, v9
	v_mul_hi_u32 v17, v4, v5
	v_mul_lo_u32 v5, v4, v5
	v_add_co_u32 v13, vcc_lo, v13, v14
	v_add_co_ci_u32_e32 v14, vcc_lo, 0, v15, vcc_lo
	v_add_co_u32 v9, vcc_lo, v13, v9
	v_add_co_ci_u32_e32 v9, vcc_lo, v14, v16, vcc_lo
	v_add_co_ci_u32_e32 v13, vcc_lo, 0, v17, vcc_lo
	v_add_co_u32 v5, vcc_lo, v9, v5
	v_add_co_ci_u32_e32 v9, vcc_lo, 0, v13, vcc_lo
	v_add_co_u32 v3, vcc_lo, v3, v5
	v_add_co_ci_u32_e32 v4, vcc_lo, v4, v9, vcc_lo
	v_mul_hi_u32 v5, s0, v3
	v_mul_lo_u32 v13, s30, v3
	v_mul_lo_u32 v9, s0, v4
	v_add_nc_u32_e32 v5, v5, v9
	v_mul_lo_u32 v9, s0, v3
	v_add_nc_u32_e32 v5, v5, v13
	v_mul_hi_u32 v13, v3, v9
	v_mul_lo_u32 v14, v3, v5
	v_mul_hi_u32 v15, v3, v5
	v_mul_hi_u32 v16, v4, v9
	v_mul_lo_u32 v9, v4, v9
	v_mul_hi_u32 v17, v4, v5
	v_mul_lo_u32 v5, v4, v5
	v_add_co_u32 v13, vcc_lo, v13, v14
	v_add_co_ci_u32_e32 v14, vcc_lo, 0, v15, vcc_lo
	v_add_co_u32 v9, vcc_lo, v13, v9
	v_add_co_ci_u32_e32 v9, vcc_lo, v14, v16, vcc_lo
	v_add_co_ci_u32_e32 v13, vcc_lo, 0, v17, vcc_lo
	v_add_co_u32 v5, vcc_lo, v9, v5
	v_add_co_ci_u32_e32 v9, vcc_lo, 0, v13, vcc_lo
	v_add_co_u32 v5, vcc_lo, v3, v5
	v_add_co_ci_u32_e32 v9, vcc_lo, v4, v9, vcc_lo
	v_mul_hi_u32 v17, v10, v5
	v_mad_u64_u32 v[13:14], null, v11, v5, 0
	v_mad_u64_u32 v[3:4], null, v10, v9, 0
	;; [unrolled: 1-line block ×3, first 2 shown]
	v_add_co_u32 v3, vcc_lo, v17, v3
	v_add_co_ci_u32_e32 v4, vcc_lo, 0, v4, vcc_lo
	v_add_co_u32 v3, vcc_lo, v3, v13
	v_add_co_ci_u32_e32 v3, vcc_lo, v4, v14, vcc_lo
	v_add_co_ci_u32_e32 v4, vcc_lo, 0, v16, vcc_lo
	v_add_co_u32 v5, vcc_lo, v3, v15
	v_add_co_ci_u32_e32 v9, vcc_lo, 0, v4, vcc_lo
	v_mul_lo_u32 v13, s29, v5
	v_mad_u64_u32 v[3:4], null, s28, v5, 0
	v_mul_lo_u32 v14, s28, v9
	v_sub_co_u32 v3, vcc_lo, v10, v3
	v_add3_u32 v4, v4, v14, v13
	v_sub_nc_u32_e32 v13, v11, v4
	v_subrev_co_ci_u32_e64 v13, s0, s29, v13, vcc_lo
	v_add_co_u32 v14, s0, v5, 2
	v_add_co_ci_u32_e64 v15, s0, 0, v9, s0
	v_sub_co_u32 v16, s0, v3, s28
	v_sub_co_ci_u32_e32 v4, vcc_lo, v11, v4, vcc_lo
	v_subrev_co_ci_u32_e64 v13, s0, 0, v13, s0
	v_cmp_le_u32_e32 vcc_lo, s28, v16
	v_cmp_eq_u32_e64 s0, s29, v4
	v_cndmask_b32_e64 v16, 0, -1, vcc_lo
	v_cmp_le_u32_e32 vcc_lo, s29, v13
	v_cndmask_b32_e64 v17, 0, -1, vcc_lo
	v_cmp_le_u32_e32 vcc_lo, s28, v3
	v_cndmask_b32_e64 v3, 0, -1, vcc_lo
	v_cmp_le_u32_e32 vcc_lo, s29, v4
	v_cndmask_b32_e64 v18, 0, -1, vcc_lo
	v_cmp_eq_u32_e32 vcc_lo, s29, v13
	v_cndmask_b32_e64 v3, v18, v3, s0
	v_cndmask_b32_e32 v13, v17, v16, vcc_lo
	v_add_co_u32 v16, vcc_lo, v5, 1
	v_add_co_ci_u32_e32 v17, vcc_lo, 0, v9, vcc_lo
	v_cmp_ne_u32_e32 vcc_lo, 0, v13
	v_cndmask_b32_e32 v4, v17, v15, vcc_lo
	v_cndmask_b32_e32 v13, v16, v14, vcc_lo
	v_cmp_ne_u32_e32 vcc_lo, 0, v3
	v_cndmask_b32_e32 v4, v9, v4, vcc_lo
	v_cndmask_b32_e32 v3, v5, v13, vcc_lo
.LBB0_4:                                ;   in Loop: Header=BB0_2 Depth=1
	s_andn2_saveexec_b32 s0, s1
	s_cbranch_execz .LBB0_6
; %bb.5:                                ;   in Loop: Header=BB0_2 Depth=1
	v_cvt_f32_u32_e32 v3, s28
	s_sub_i32 s1, 0, s28
	v_rcp_iflag_f32_e32 v3, v3
	v_mul_f32_e32 v3, 0x4f7ffffe, v3
	v_cvt_u32_f32_e32 v3, v3
	v_mul_lo_u32 v4, s1, v3
	v_mul_hi_u32 v4, v3, v4
	v_add_nc_u32_e32 v3, v3, v4
	v_mul_hi_u32 v3, v10, v3
	v_mul_lo_u32 v4, v3, s28
	v_add_nc_u32_e32 v5, 1, v3
	v_sub_nc_u32_e32 v4, v10, v4
	v_subrev_nc_u32_e32 v9, s28, v4
	v_cmp_le_u32_e32 vcc_lo, s28, v4
	v_cndmask_b32_e32 v4, v4, v9, vcc_lo
	v_cndmask_b32_e32 v3, v3, v5, vcc_lo
	v_cmp_le_u32_e32 vcc_lo, s28, v4
	v_add_nc_u32_e32 v5, 1, v3
	v_mov_b32_e32 v4, v8
	v_cndmask_b32_e32 v3, v3, v5, vcc_lo
.LBB0_6:                                ;   in Loop: Header=BB0_2 Depth=1
	s_or_b32 exec_lo, exec_lo, s0
	v_mul_lo_u32 v5, v4, s28
	v_mul_lo_u32 v9, v3, s29
	s_load_dwordx2 s[0:1], s[22:23], 0x0
	v_mad_u64_u32 v[13:14], null, v3, s28, 0
	s_load_dwordx2 s[28:29], s[6:7], 0x0
	s_add_u32 s26, s26, 1
	s_addc_u32 s27, s27, 0
	s_add_u32 s6, s6, 8
	s_addc_u32 s7, s7, 0
	s_add_u32 s22, s22, 8
	v_add3_u32 v5, v14, v9, v5
	v_sub_co_u32 v9, vcc_lo, v10, v13
	s_addc_u32 s23, s23, 0
	s_add_u32 s24, s24, 8
	v_sub_co_ci_u32_e32 v5, vcc_lo, v11, v5, vcc_lo
	s_addc_u32 s25, s25, 0
	s_waitcnt lgkmcnt(0)
	v_mul_lo_u32 v10, s0, v5
	v_mul_lo_u32 v11, s1, v9
	v_mad_u64_u32 v[6:7], null, s0, v9, v[6:7]
	v_mul_lo_u32 v5, s28, v5
	v_mul_lo_u32 v13, s29, v9
	v_mad_u64_u32 v[1:2], null, s28, v9, v[1:2]
	v_cmp_ge_u64_e64 s0, s[26:27], s[14:15]
	v_add3_u32 v7, v11, v7, v10
	v_add3_u32 v2, v13, v2, v5
	s_and_b32 vcc_lo, exec_lo, s0
	s_cbranch_vccnz .LBB0_9
; %bb.7:                                ;   in Loop: Header=BB0_2 Depth=1
	v_mov_b32_e32 v11, v4
	v_mov_b32_e32 v10, v3
	s_branch .LBB0_2
.LBB0_8:
	v_mov_b32_e32 v1, v6
	v_mov_b32_e32 v3, v10
	;; [unrolled: 1-line block ×4, first 2 shown]
.LBB0_9:
	s_load_dwordx2 s[0:1], s[4:5], 0x28
	v_mul_hi_u32 v10, 0x13b13b14, v0
	s_lshl_b64 s[6:7], s[14:15], 3
                                        ; implicit-def: $sgpr14
                                        ; implicit-def: $vgpr5
	s_add_u32 s4, s18, s6
	s_addc_u32 s5, s19, s7
	s_waitcnt lgkmcnt(0)
	v_cmp_gt_u64_e32 vcc_lo, s[0:1], v[3:4]
	v_cmp_le_u64_e64 s0, s[0:1], v[3:4]
	s_and_saveexec_b32 s1, s0
	s_xor_b32 s0, exec_lo, s1
; %bb.10:
	v_mul_u32_u24_e32 v5, 13, v10
	s_mov_b32 s14, 0
                                        ; implicit-def: $vgpr10
                                        ; implicit-def: $vgpr6_vgpr7
	v_sub_nc_u32_e32 v5, v0, v5
                                        ; implicit-def: $vgpr0
; %bb.11:
	s_or_saveexec_b32 s1, s0
	s_load_dwordx2 s[4:5], s[4:5], 0x0
	v_mov_b32_e32 v8, s14
                                        ; implicit-def: $vgpr14
                                        ; implicit-def: $vgpr15
                                        ; implicit-def: $vgpr16
                                        ; implicit-def: $vgpr17
                                        ; implicit-def: $vgpr18
                                        ; implicit-def: $vgpr23
                                        ; implicit-def: $vgpr22
                                        ; implicit-def: $vgpr21
                                        ; implicit-def: $vgpr20
                                        ; implicit-def: $vgpr19
                                        ; implicit-def: $vgpr25
                                        ; implicit-def: $vgpr24
                                        ; implicit-def: $vgpr11
                                        ; implicit-def: $vgpr27
                                        ; implicit-def: $vgpr31
                                        ; implicit-def: $vgpr32
                                        ; implicit-def: $vgpr37
                                        ; implicit-def: $vgpr38
                                        ; implicit-def: $vgpr28
                                        ; implicit-def: $vgpr30
                                        ; implicit-def: $vgpr29
                                        ; implicit-def: $vgpr35
                                        ; implicit-def: $vgpr9
                                        ; implicit-def: $vgpr13
                                        ; implicit-def: $vgpr26
	s_xor_b32 exec_lo, exec_lo, s1
	s_cbranch_execz .LBB0_15
; %bb.12:
	s_add_u32 s6, s16, s6
	s_addc_u32 s7, s17, s7
	v_mul_u32_u24_e32 v5, 13, v10
	s_load_dwordx2 s[6:7], s[6:7], 0x0
	v_lshlrev_b64 v[6:7], 2, v[6:7]
	v_sub_nc_u32_e32 v5, v0, v5
	v_mad_u64_u32 v[8:9], null, s20, v5, 0
	v_add_nc_u32_e32 v20, 14, v5
	v_add_nc_u32_e32 v23, 28, v5
	;; [unrolled: 1-line block ×5, first 2 shown]
	v_mad_u64_u32 v[10:11], null, s20, v20, 0
	v_mov_b32_e32 v0, v9
	v_mad_u64_u32 v[13:14], null, s20, v23, 0
	s_waitcnt lgkmcnt(0)
	v_mul_lo_u32 v9, s7, v3
	v_mul_lo_u32 v21, s6, v4
	v_mad_u64_u32 v[15:16], null, s6, v3, 0
	v_mad_u64_u32 v[17:18], null, s21, v5, v[0:1]
	v_mov_b32_e32 v0, v11
	v_mov_b32_e32 v11, v14
	v_mad_u64_u32 v[18:19], null, s20, v24, 0
	v_add3_u32 v16, v16, v21, v9
	v_mad_u64_u32 v[20:21], null, s21, v20, v[0:1]
	v_mov_b32_e32 v9, v17
	v_mad_u64_u32 v[21:22], null, s20, v25, 0
	v_lshlrev_b64 v[14:15], 2, v[15:16]
	v_mad_u64_u32 v[16:17], null, s21, v23, v[11:12]
	v_mov_b32_e32 v11, v20
	v_lshlrev_b64 v[8:9], 2, v[8:9]
	v_mov_b32_e32 v0, v19
	v_add_co_u32 v17, s0, s8, v14
	v_add_co_ci_u32_e64 v15, s0, s9, v15, s0
	v_lshlrev_b64 v[10:11], 2, v[10:11]
	v_add_co_u32 v6, s0, v17, v6
	v_add_co_ci_u32_e64 v7, s0, v15, v7, s0
	v_mov_b32_e32 v14, v16
	v_add_co_u32 v15, s0, v6, v8
	v_add_co_ci_u32_e64 v16, s0, v7, v9, s0
	v_mad_u64_u32 v[8:9], null, s21, v24, v[0:1]
	v_add_co_u32 v9, s0, v6, v10
	v_add_co_ci_u32_e64 v10, s0, v7, v11, s0
	v_add_nc_u32_e32 v11, 0x46, v5
	v_mov_b32_e32 v0, v22
	v_mov_b32_e32 v19, v8
	v_add_nc_u32_e32 v8, 0x54, v5
	v_lshlrev_b64 v[13:14], 2, v[13:14]
	v_mad_u64_u32 v[23:24], null, s20, v11, 0
	v_mad_u64_u32 v[25:26], null, s21, v25, v[0:1]
	v_lshlrev_b64 v[17:18], 2, v[18:19]
	v_mad_u64_u32 v[19:20], null, s20, v8, 0
	v_add_co_u32 v13, s0, v6, v13
	v_mov_b32_e32 v0, v24
	v_mov_b32_e32 v22, v25
	v_add_co_ci_u32_e64 v14, s0, v7, v14, s0
	v_add_co_u32 v17, s0, v6, v17
	v_mad_u64_u32 v[24:25], null, s21, v11, v[0:1]
	v_add_nc_u32_e32 v11, 0x62, v5
	v_mov_b32_e32 v0, v20
	v_lshlrev_b64 v[21:22], 2, v[21:22]
	v_add_co_ci_u32_e64 v18, s0, v7, v18, s0
	v_mad_u64_u32 v[25:26], null, s20, v11, 0
	v_mad_u64_u32 v[27:28], null, s21, v8, v[0:1]
	v_or_b32_e32 v8, 0x70, v5
	v_lshlrev_b64 v[23:24], 2, v[23:24]
	v_add_co_u32 v21, s0, v6, v21
	v_mov_b32_e32 v0, v26
	v_mad_u64_u32 v[28:29], null, s20, v8, 0
	v_mov_b32_e32 v20, v27
	v_add_nc_u32_e32 v27, 0x8c, v5
	v_mad_u64_u32 v[30:31], null, s21, v11, v[0:1]
	v_add_nc_u32_e32 v11, 0x7e, v5
	v_lshlrev_b64 v[19:20], 2, v[19:20]
	v_mov_b32_e32 v0, v29
	v_mad_u64_u32 v[32:33], null, s20, v27, 0
	v_add_co_ci_u32_e64 v22, s0, v7, v22, s0
	v_mov_b32_e32 v26, v30
	v_mad_u64_u32 v[29:30], null, s21, v8, v[0:1]
	v_mad_u64_u32 v[30:31], null, s20, v11, 0
	v_mov_b32_e32 v8, v33
	v_add_co_u32 v23, s0, v6, v23
	v_lshlrev_b64 v[25:26], 2, v[25:26]
	v_add_co_ci_u32_e64 v24, s0, v7, v24, s0
	v_mov_b32_e32 v0, v31
	v_add_co_u32 v19, s0, v6, v19
	v_add_co_ci_u32_e64 v20, s0, v7, v20, s0
	v_mad_u64_u32 v[33:34], null, s21, v11, v[0:1]
	v_mad_u64_u32 v[34:35], null, s21, v27, v[8:9]
	;; [unrolled: 1-line block ×3, first 2 shown]
	v_add_nc_u32_e32 v8, 0xa8, v5
	v_lshlrev_b64 v[27:28], 2, v[28:29]
	v_add_co_u32 v25, s0, v6, v25
	v_mov_b32_e32 v31, v33
	v_mad_u64_u32 v[37:38], null, s20, v8, 0
	v_mov_b32_e32 v0, v36
	v_mov_b32_e32 v33, v34
	v_add_co_ci_u32_e64 v26, s0, v7, v26, s0
	s_mov_b32 s6, exec_lo
	v_mad_u64_u32 v[39:40], null, s21, v39, v[0:1]
	v_mov_b32_e32 v0, v38
	v_add_co_u32 v40, s0, v6, v27
	v_add_co_ci_u32_e64 v41, s0, v7, v28, s0
	v_lshlrev_b64 v[27:28], 2, v[30:31]
	v_lshlrev_b64 v[29:30], 2, v[32:33]
	v_mad_u64_u32 v[31:32], null, s21, v8, v[0:1]
	v_mov_b32_e32 v36, v39
	v_mov_b32_e32 v8, 0
	v_add_co_u32 v33, s0, v6, v27
	v_add_co_ci_u32_e64 v34, s0, v7, v28, s0
	v_mov_b32_e32 v38, v31
	v_lshlrev_b64 v[27:28], 2, v[35:36]
	v_add_co_u32 v35, s0, v6, v29
	v_add_co_ci_u32_e64 v36, s0, v7, v30, s0
	v_lshlrev_b64 v[38:39], 2, v[37:38]
	v_add_co_u32 v42, s0, v6, v27
	v_add_co_ci_u32_e64 v43, s0, v7, v28, s0
	s_clause 0x7
	global_load_dword v29, v[13:14], off
	global_load_dword v28, v[17:18], off
	;; [unrolled: 1-line block ×8, first 2 shown]
	v_add_co_u32 v13, s0, v6, v38
	v_add_co_ci_u32_e64 v14, s0, v7, v39, s0
	s_clause 0x4
	global_load_dword v32, v[40:41], off
	global_load_dword v38, v[33:34], off
	;; [unrolled: 1-line block ×5, first 2 shown]
                                        ; implicit-def: $vgpr24
                                        ; implicit-def: $vgpr25
                                        ; implicit-def: $vgpr19
                                        ; implicit-def: $vgpr20
                                        ; implicit-def: $vgpr21
                                        ; implicit-def: $vgpr22
                                        ; implicit-def: $vgpr23
                                        ; implicit-def: $vgpr18
                                        ; implicit-def: $vgpr17
                                        ; implicit-def: $vgpr16
                                        ; implicit-def: $vgpr15
                                        ; implicit-def: $vgpr14
	v_cmpx_eq_u32_e32 0, v5
	s_cbranch_execz .LBB0_14
; %bb.13:
	v_mad_u64_u32 v[14:15], null, s20, 52, v[6:7]
	v_mad_u64_u32 v[16:17], null, 0x6c, s20, v[6:7]
	v_mad_u64_u32 v[20:21], null, 0xdc, s20, v[6:7]
	v_mad_u64_u32 v[33:34], null, 0x114, s20, v[6:7]
	v_mov_b32_e32 v0, v15
	v_mad_u64_u32 v[18:19], null, 0xa4, s20, v[6:7]
	v_mov_b32_e32 v5, v17
	v_mad_u64_u32 v[43:44], null, 0x184, s20, v[6:7]
	v_mad_u64_u32 v[22:23], null, s21, 52, v[0:1]
	v_mad_u64_u32 v[23:24], null, 0x6c, s21, v[5:6]
	v_mov_b32_e32 v5, v21
	v_mov_b32_e32 v8, v34
	;; [unrolled: 1-line block ×3, first 2 shown]
	v_mad_u64_u32 v[45:46], null, 0x1bc, s20, v[6:7]
	v_mad_u64_u32 v[39:40], null, 0xdc, s21, v[5:6]
	s_waitcnt vmcnt(6)
	v_mad_u64_u32 v[40:41], null, 0x114, s21, v[8:9]
	v_mad_u64_u32 v[41:42], null, 0x14c, s20, v[6:7]
	v_mad_u64_u32 v[24:25], null, 0xa4, s21, v[0:1]
	v_mad_u64_u32 v[47:48], null, 0x22c, s20, v[6:7]
	v_mov_b32_e32 v21, v39
	v_mov_b32_e32 v34, v40
	v_mad_u64_u32 v[39:40], null, 0x1f4, s20, v[6:7]
	v_mov_b32_e32 v0, v42
	v_mov_b32_e32 v5, v44
	v_mad_u64_u32 v[49:50], null, 0x264, s20, v[6:7]
	;; [unrolled: 3-line block ×3, first 2 shown]
	v_mad_u64_u32 v[51:52], null, 0x29c, s20, v[6:7]
	v_mov_b32_e32 v19, v24
	v_mov_b32_e32 v8, v46
	v_mad_u64_u32 v[23:24], null, 0x184, s21, v[5:6]
	v_mad_u64_u32 v[5:6], null, 0x2d4, s20, v[6:7]
	v_mov_b32_e32 v7, v48
	v_mov_b32_e32 v0, v40
	v_mad_u64_u32 v[24:25], null, 0x1bc, s21, v[8:9]
	v_mov_b32_e32 v42, v22
	v_mad_u64_u32 v[7:8], null, 0x22c, s21, v[7:8]
	v_mad_u64_u32 v[53:54], null, 0x1f4, s21, v[0:1]
	v_mov_b32_e32 v0, v50
	v_mov_b32_e32 v8, v52
	;; [unrolled: 1-line block ×5, first 2 shown]
	v_mad_u64_u32 v[54:55], null, 0x264, s21, v[0:1]
	v_mad_u64_u32 v[55:56], null, 0x29c, s21, v[8:9]
	;; [unrolled: 1-line block ×3, first 2 shown]
	v_mov_b32_e32 v40, v53
	v_mov_b32_e32 v50, v54
	;; [unrolled: 1-line block ×4, first 2 shown]
	s_clause 0xc
	global_load_dword v8, v[14:15], off
	global_load_dword v25, v[16:17], off
	;; [unrolled: 1-line block ×13, first 2 shown]
	v_mov_b32_e32 v5, 0
.LBB0_14:
	s_or_b32 exec_lo, exec_lo, s6
.LBB0_15:
	s_or_b32 exec_lo, exec_lo, s1
	s_waitcnt vmcnt(5)
	v_pk_add_f16 v0, v26, v9
	v_and_b32_e32 v12, 3, v12
	s_waitcnt vmcnt(0)
	v_pk_add_f16 v33, v9, v13 neg_lo:[0,1] neg_hi:[0,1]
	v_mov_b32_e32 v6, 0xb770
	v_pk_add_f16 v36, v9, v13
	v_pk_add_f16 v34, v0, v29
	v_mul_u32_u24_e32 v0, 0xb6, v12
	v_mov_b32_e32 v7, 0xbbf1
	v_mov_b32_e32 v10, 0xbb7b
	v_pk_mul_f16 v39, 0xba95b770, v33
	v_pk_add_f16 v12, v34, v28
	v_mul_f16_sdwa v34, v33, v6 dst_sel:DWORD dst_unused:UNUSED_PAD src0_sel:WORD_1 src1_sel:DWORD
	v_lshrrev_b32_e32 v40, 16, v36
	v_mul_f16_sdwa v42, v33, v7 dst_sel:DWORD dst_unused:UNUSED_PAD src0_sel:WORD_1 src1_sel:DWORD
	v_mul_f16_e32 v43, 0xbbf1, v33
	v_pk_add_f16 v12, v12, v37
	v_mul_f16_sdwa v44, v33, v10 dst_sel:DWORD dst_unused:UNUSED_PAD src0_sel:WORD_1 src1_sel:DWORD
	v_mul_f16_e32 v45, 0xbb7b, v33
	v_fmamk_f16 v47, v36, 0x3b15, v34
	v_fma_f16 v34, v36, 0x3b15, -v34
	v_pk_add_f16 v12, v12, v31
	v_pk_fma_f16 v48, 0x3b15388b, v36, v39 op_sel:[0,0,1] op_sel_hi:[1,1,0]
	v_pk_fma_f16 v49, 0x3b15388b, v36, v39 op_sel:[0,0,1] op_sel_hi:[1,1,0] neg_lo:[0,0,1] neg_hi:[0,0,1]
	v_fmamk_f16 v50, v36, 0x2fb7, v42
	v_fma_f16 v51, v40, 0x2fb7, -v43
	v_pk_add_f16 v12, v12, v11
	v_fmamk_f16 v52, v36, 0xb5ac, v44
	v_fma_f16 v53, v40, 0xb5ac, -v45
	v_add_f16_e32 v54, v34, v26
	v_bfi_b32 v34, 0xffff, v48, v49
	v_pk_add_f16 v12, v12, v27
	v_pk_add_f16 v55, v48, v26
	v_add_f16_e32 v48, v50, v26
	v_add_f16_sdwa v50, v51, v26 dst_sel:DWORD dst_unused:UNUSED_PAD src0_sel:DWORD src1_sel:WORD_1
	v_add_f16_e32 v51, v52, v26
	v_pk_add_f16 v12, v12, v32
	v_add_f16_sdwa v52, v53, v26 dst_sel:DWORD dst_unused:UNUSED_PAD src0_sel:DWORD src1_sel:WORD_1
	v_pk_add_f16 v53, v34, v26
	v_pk_add_f16 v57, v29, v35 neg_lo:[0,1] neg_hi:[0,1]
	v_mul_f16_e32 v41, 0xba95, v33
	v_pk_add_f16 v12, v12, v38
	v_pk_add_f16 v59, v29, v35
	v_fmac_f16_e32 v43, 0x2fb7, v40
	v_fmac_f16_e32 v45, 0xb5ac, v40
	v_fma_f16 v39, v40, 0x388b, -v41
	v_pk_add_f16 v12, v12, v30
	v_fmac_f16_e32 v41, 0x388b, v40
	v_add_f16_e32 v47, v47, v26
	v_mov_b32_e32 v9, 0xb94e
	v_fma_f16 v42, v36, 0x2fb7, -v42
	v_pk_add_f16 v12, v12, v35
	v_pk_mul_f16 v35, 0xbb7bba95, v57
	v_add_f16_sdwa v39, v39, v26 dst_sel:DWORD dst_unused:UNUSED_PAD src0_sel:DWORD src1_sel:WORD_1
	v_add_f16_sdwa v41, v41, v26 dst_sel:DWORD dst_unused:UNUSED_PAD src0_sel:DWORD src1_sel:WORD_1
	v_mul_f16_e32 v63, 0xb3a8, v57
	v_pk_add_f16 v34, v12, v13
	v_mul_f16_e32 v12, 0xb94e, v33
	v_mov_b32_e32 v13, 0xba95
	v_pk_fma_f16 v60, 0x388bb5ac, v59, v35 op_sel:[0,0,1] op_sel_hi:[1,1,0]
	v_pk_fma_f16 v61, 0x388bb5ac, v59, v35 op_sel:[0,0,1] op_sel_hi:[1,1,0] neg_lo:[0,0,1] neg_hi:[0,0,1]
	v_mul_f16_e32 v35, 0xbb7b, v57
	v_fma_f16 v58, v40, 0xb9fd, -v12
	v_mul_f16_sdwa v29, v57, v13 dst_sel:DWORD dst_unused:UNUSED_PAD src0_sel:WORD_1 src1_sel:DWORD
	v_fmac_f16_e32 v12, 0xb9fd, v40
	v_pk_add_f16 v55, v60, v55
	v_mul_f16_sdwa v46, v33, v9 dst_sel:DWORD dst_unused:UNUSED_PAD src0_sel:WORD_1 src1_sel:DWORD
	v_fma_f16 v44, v36, 0xb5ac, -v44
	v_fmamk_f16 v40, v59, 0x388b, v29
	v_fma_f16 v29, v59, 0x388b, -v29
	v_add_f16_sdwa v62, v12, v26 dst_sel:DWORD dst_unused:UNUSED_PAD src0_sel:DWORD src1_sel:WORD_1
	v_mov_b32_e32 v12, 0xb3a8
	v_add_f16_e32 v42, v42, v26
	v_add_f16_e32 v40, v40, v47
	;; [unrolled: 1-line block ×3, first 2 shown]
	v_bfi_b32 v29, 0xffff, v60, v61
	v_lshrrev_b32_e32 v54, 16, v59
	v_mul_f16_sdwa v60, v57, v12 dst_sel:DWORD dst_unused:UNUSED_PAD src0_sel:WORD_1 src1_sel:DWORD
	v_add_f16_sdwa v43, v43, v26 dst_sel:DWORD dst_unused:UNUSED_PAD src0_sel:DWORD src1_sel:WORD_1
	v_add_f16_e32 v44, v44, v26
	v_pk_add_f16 v53, v29, v53
	v_fma_f16 v64, v54, 0xb5ac, -v35
	v_fmac_f16_e32 v35, 0xb5ac, v54
	v_fmamk_f16 v65, v59, 0xbbc4, v60
	v_mov_b32_e32 v29, 0x394e
	v_fma_f16 v66, v54, 0xbbc4, -v63
	v_add_f16_e32 v39, v64, v39
	v_add_f16_e32 v41, v35, v41
	;; [unrolled: 1-line block ×3, first 2 shown]
	v_mul_f16_sdwa v64, v57, v29 dst_sel:DWORD dst_unused:UNUSED_PAD src0_sel:WORD_1 src1_sel:DWORD
	v_fma_f16 v60, v59, 0xbbc4, -v60
	v_mul_f16_e32 v65, 0x394e, v57
	v_fmac_f16_e32 v63, 0xbbc4, v54
	v_mov_b32_e32 v35, 0x3bf1
	v_fmamk_f16 v56, v36, 0xb9fd, v46
	v_add_f16_e32 v50, v66, v50
	v_fmamk_f16 v66, v59, 0xb9fd, v64
	v_add_f16_e32 v42, v60, v42
	v_fma_f16 v60, v54, 0xb9fd, -v65
	v_add_f16_e32 v43, v63, v43
	v_mul_f16_sdwa v63, v57, v35 dst_sel:DWORD dst_unused:UNUSED_PAD src0_sel:WORD_1 src1_sel:DWORD
	v_fma_f16 v64, v59, 0xb9fd, -v64
	v_add_f16_sdwa v45, v45, v26 dst_sel:DWORD dst_unused:UNUSED_PAD src0_sel:DWORD src1_sel:WORD_1
	v_add_f16_e32 v56, v56, v26
	v_fma_f16 v46, v36, 0xb9fd, -v46
	v_add_f16_e32 v51, v66, v51
	v_add_f16_e32 v52, v60, v52
	v_fmac_f16_e32 v65, 0xb9fd, v54
	v_fmamk_f16 v60, v59, 0x2fb7, v63
	v_mul_f16_e32 v66, 0x3bf1, v57
	v_add_f16_e32 v44, v64, v44
	v_pk_add_f16 v64, v28, v30 neg_lo:[0,1] neg_hi:[0,1]
	v_add_f16_sdwa v58, v58, v26 dst_sel:DWORD dst_unused:UNUSED_PAD src0_sel:DWORD src1_sel:WORD_1
	v_add_f16_e32 v46, v46, v26
	v_add_f16_e32 v45, v65, v45
	;; [unrolled: 1-line block ×3, first 2 shown]
	v_fma_f16 v60, v54, 0x2fb7, -v66
	v_pk_add_f16 v65, v28, v30
	v_mul_f16_sdwa v28, v64, v7 dst_sel:DWORD dst_unused:UNUSED_PAD src0_sel:WORD_1 src1_sel:DWORD
	v_fma_f16 v30, v59, 0x2fb7, -v63
	v_pk_mul_f16 v63, 0xb3a8bbf1, v64
	v_add_f16_e32 v58, v60, v58
	v_fmac_f16_e32 v66, 0x2fb7, v54
	v_fmamk_f16 v54, v65, 0x2fb7, v28
	v_add_f16_e32 v46, v30, v46
	v_pk_fma_f16 v30, 0x2fb7bbc4, v65, v63 op_sel:[0,0,1] op_sel_hi:[1,1,0]
	v_pk_fma_f16 v60, 0x2fb7bbc4, v65, v63 op_sel:[0,0,1] op_sel_hi:[1,1,0] neg_lo:[0,0,1] neg_hi:[0,0,1]
	v_add_f16_e32 v62, v66, v62
	v_add_f16_e32 v40, v54, v40
	v_fma_f16 v54, v65, 0x2fb7, -v28
	v_mov_b32_e32 v28, 0x3b7b
	v_bfi_b32 v63, 0xffff, v30, v60
	v_lshrrev_b32_e32 v66, 16, v65
	v_mul_f16_e32 v67, 0xb3a8, v64
	v_add_f16_e32 v47, v54, v47
	v_mul_f16_sdwa v54, v64, v28 dst_sel:DWORD dst_unused:UNUSED_PAD src0_sel:WORD_1 src1_sel:DWORD
	v_pk_add_f16 v55, v30, v55
	v_pk_add_f16 v53, v63, v53
	v_fma_f16 v63, v66, 0xbbc4, -v67
	v_mov_b32_e32 v30, 0x3770
	v_fmac_f16_e32 v67, 0xbbc4, v66
	v_fmamk_f16 v68, v65, 0xb5ac, v54
	v_mul_f16_e32 v69, 0x3b7b, v64
	v_add_f16_e32 v39, v63, v39
	v_mul_f16_sdwa v63, v64, v30 dst_sel:DWORD dst_unused:UNUSED_PAD src0_sel:WORD_1 src1_sel:DWORD
	v_fma_f16 v54, v65, 0xb5ac, -v54
	v_add_f16_e32 v41, v67, v41
	v_add_f16_e32 v48, v68, v48
	v_fma_f16 v67, v66, 0xb5ac, -v69
	v_mul_f16_e32 v68, 0x3770, v64
	v_add_f16_e32 v42, v54, v42
	v_fma_f16 v54, v65, 0x3b15, -v63
	v_fmac_f16_e32 v69, 0xb5ac, v66
	v_add_f16_e32 v50, v67, v50
	v_fma_f16 v67, v66, 0x3b15, -v68
	v_fmamk_f16 v70, v65, 0x3b15, v63
	v_add_f16_e32 v44, v54, v44
	v_pk_add_f16 v54, v37, v38 neg_lo:[0,1] neg_hi:[0,1]
	v_mul_f16_sdwa v63, v64, v13 dst_sel:DWORD dst_unused:UNUSED_PAD src0_sel:WORD_1 src1_sel:DWORD
	v_add_f16_e32 v52, v67, v52
	v_mul_f16_e32 v67, 0xba95, v64
	v_fmac_f16_e32 v68, 0x3b15, v66
	v_pk_add_f16 v37, v37, v38
	v_mul_f16_sdwa v38, v54, v10 dst_sel:DWORD dst_unused:UNUSED_PAD src0_sel:WORD_1 src1_sel:DWORD
	v_add_f16_e32 v43, v69, v43
	v_add_f16_e32 v51, v70, v51
	v_fmamk_f16 v69, v65, 0x388b, v63
	v_fma_f16 v70, v66, 0x388b, -v67
	v_add_f16_e32 v45, v68, v45
	v_fma_f16 v63, v65, 0x388b, -v63
	v_fmac_f16_e32 v67, 0x388b, v66
	v_fmamk_f16 v66, v37, 0xb5ac, v38
	v_pk_mul_f16 v68, 0x394ebb7b, v54
	v_fma_f16 v38, v37, 0xb5ac, -v38
	v_add_f16_e32 v46, v63, v46
	v_add_f16_e32 v62, v67, v62
	;; [unrolled: 1-line block ×3, first 2 shown]
	v_pk_fma_f16 v63, 0xb5acb9fd, v37, v68 op_sel:[0,0,1] op_sel_hi:[1,1,0]
	v_add_f16_e32 v38, v38, v47
	v_pk_fma_f16 v47, 0xb5acb9fd, v37, v68 op_sel:[0,0,1] op_sel_hi:[1,1,0] neg_lo:[0,0,1] neg_hi:[0,0,1]
	v_lshrrev_b32_e32 v66, 16, v37
	v_mul_f16_e32 v67, 0x394e, v54
	v_add_f16_e32 v56, v69, v56
	v_add_f16_e32 v58, v70, v58
	v_pk_add_f16 v55, v63, v55
	v_mul_f16_sdwa v68, v54, v30 dst_sel:DWORD dst_unused:UNUSED_PAD src0_sel:WORD_1 src1_sel:DWORD
	v_mul_f16_e32 v69, 0x3770, v54
	v_bfi_b32 v63, 0xffff, v63, v47
	v_fma_f16 v70, v66, 0xb9fd, -v67
	v_fmac_f16_e32 v67, 0xb9fd, v66
	v_fmamk_f16 v71, v37, 0x3b15, v68
	v_fma_f16 v72, v66, 0x3b15, -v69
	v_pk_add_f16 v53, v63, v53
	v_add_f16_e32 v63, v70, v39
	v_add_f16_e32 v41, v67, v41
	v_mul_f16_sdwa v67, v54, v7 dst_sel:DWORD dst_unused:UNUSED_PAD src0_sel:WORD_1 src1_sel:DWORD
	v_fma_f16 v68, v37, 0x3b15, -v68
	v_fmac_f16_e32 v69, 0x3b15, v66
	v_mul_f16_e32 v70, 0xbbf1, v54
	v_mov_b32_e32 v39, 0x33a8
	v_add_f16_e32 v48, v71, v48
	v_fmamk_f16 v71, v37, 0x2fb7, v67
	v_add_f16_e32 v42, v68, v42
	v_add_f16_e32 v43, v69, v43
	v_fma_f16 v68, v66, 0x2fb7, -v70
	v_mul_f16_sdwa v69, v54, v39 dst_sel:DWORD dst_unused:UNUSED_PAD src0_sel:WORD_1 src1_sel:DWORD
	v_fma_f16 v67, v37, 0x2fb7, -v67
	v_add_f16_e32 v51, v71, v51
	v_fmac_f16_e32 v70, 0x2fb7, v66
	v_add_f16_e32 v52, v68, v52
	v_fmamk_f16 v68, v37, 0xbbc4, v69
	v_mul_f16_e32 v71, 0x33a8, v54
	v_add_f16_e32 v44, v67, v44
	v_pk_add_f16 v67, v31, v32 neg_lo:[0,1] neg_hi:[0,1]
	v_add_f16_e32 v45, v70, v45
	v_add_f16_e32 v56, v68, v56
	v_fma_f16 v68, v66, 0xbbc4, -v71
	v_fma_f16 v69, v37, 0xbbc4, -v69
	v_pk_add_f16 v31, v31, v32
	v_pk_mul_f16 v70, 0x3bf1b94e, v67
	v_mul_f16_sdwa v32, v67, v9 dst_sel:DWORD dst_unused:UNUSED_PAD src0_sel:WORD_1 src1_sel:DWORD
	v_add_f16_e32 v58, v68, v58
	v_add_f16_e32 v46, v69, v46
	v_fmac_f16_e32 v71, 0xbbc4, v66
	v_pk_fma_f16 v68, 0xb9fd2fb7, v31, v70 op_sel:[0,0,1] op_sel_hi:[1,1,0]
	v_pk_fma_f16 v69, 0xb9fd2fb7, v31, v70 op_sel:[0,0,1] op_sel_hi:[1,1,0] neg_lo:[0,0,1] neg_hi:[0,0,1]
	v_add_f16_e32 v50, v72, v50
	v_fmamk_f16 v66, v31, 0xb9fd, v32
	v_lshrrev_b32_e32 v70, 16, v31
	v_mul_f16_e32 v72, 0x3bf1, v67
	v_add_f16_e32 v62, v71, v62
	v_mul_f16_sdwa v71, v67, v13 dst_sel:DWORD dst_unused:UNUSED_PAD src0_sel:WORD_1 src1_sel:DWORD
	v_bfi_b32 v73, 0xffff, v68, v69
	v_add_f16_e32 v40, v66, v40
	v_fma_f16 v66, v70, 0x2fb7, -v72
	v_fmac_f16_e32 v72, 0x2fb7, v70
	v_fmamk_f16 v74, v31, 0x388b, v71
	v_pk_add_f16 v53, v73, v53
	v_mul_f16_e32 v73, 0xba95, v67
	v_fma_f16 v71, v31, 0x388b, -v71
	v_add_f16_e32 v41, v72, v41
	v_add_f16_e32 v48, v74, v48
	v_mul_f16_e32 v74, 0x33a8, v67
	v_fma_f16 v72, v70, 0x388b, -v73
	v_add_f16_e32 v63, v66, v63
	v_mul_f16_sdwa v66, v67, v39 dst_sel:DWORD dst_unused:UNUSED_PAD src0_sel:WORD_1 src1_sel:DWORD
	v_fmac_f16_e32 v73, 0x388b, v70
	v_add_f16_e32 v42, v71, v42
	v_add_f16_e32 v50, v72, v50
	v_fma_f16 v71, v70, 0xbbc4, -v74
	v_mul_f16_sdwa v72, v67, v30 dst_sel:DWORD dst_unused:UNUSED_PAD src0_sel:WORD_1 src1_sel:DWORD
	v_fmamk_f16 v75, v31, 0xbbc4, v66
	v_add_f16_e32 v43, v73, v43
	v_fma_f16 v66, v31, 0xbbc4, -v66
	v_mul_f16_e32 v73, 0x3770, v67
	v_add_f16_e32 v52, v71, v52
	v_fmamk_f16 v71, v31, 0x3b15, v72
	v_add_f16_e32 v49, v49, v26
	v_add_f16_e32 v44, v66, v44
	v_fma_f16 v66, v70, 0x3b15, -v73
	v_fmac_f16_e32 v74, 0xbbc4, v70
	v_add_f16_e32 v56, v71, v56
	v_pk_add_f16 v71, v11, v27
	v_pk_add_f16 v27, v11, v27 neg_lo:[0,1] neg_hi:[0,1]
	v_fma_f16 v11, v31, 0x3b15, -v72
	v_add_f16_e32 v58, v66, v58
	v_fmac_f16_e32 v73, 0x3b15, v70
	v_mul_f16_e32 v66, 0xbbc4, v71
	v_lshrrev_b32_e32 v72, 16, v27
	v_add_f16_e32 v46, v11, v46
	v_add_f16_e32 v11, v61, v49
	;; [unrolled: 1-line block ×3, first 2 shown]
	v_pk_mul_f16 v70, 0x3770b3a8, v27
	v_add_f16_e32 v62, v73, v62
	v_fmamk_f16 v73, v72, 0xb3a8, v66
	v_lshrrev_b32_e32 v74, 16, v71
	v_mul_f16_e32 v76, 0x3770, v27
	v_add_f16_e32 v60, v60, v11
	v_pk_fma_f16 v49, 0xbbc43b15, v71, v70 op_sel:[0,0,1] op_sel_hi:[1,1,0] neg_lo:[0,0,1] neg_hi:[0,0,1]
	v_pk_fma_f16 v61, 0xbbc43b15, v71, v70 op_sel:[0,0,1] op_sel_hi:[1,1,0]
	v_add_f16_e32 v40, v73, v40
	v_fma_f16 v73, v74, 0x3b15, -v76
	v_add_f16_e32 v47, v47, v60
	v_mul_f16_e32 v60, 0xb94e, v72
	v_add_f16_e32 v51, v75, v51
	v_mul_u32_u24_e32 v75, 52, v5
	v_bfi_b32 v61, 0xffff, v61, v49
	v_lshlrev_b32_e32 v11, 2, v0
	v_add_f16_e32 v63, v73, v63
	v_add_f16_e32 v47, v69, v47
	v_fmamk_f16 v69, v71, 0xb9fd, v60
	v_mul_f16_e32 v73, 0xb94e, v27
	v_pk_add_f16 v53, v61, v53
	v_add3_u32 v61, 0, v75, v11
	v_add_f16_e32 v47, v49, v47
	v_add_f16_e32 v48, v69, v48
	v_fma_f16 v49, v74, 0xb9fd, -v73
	v_fma_f16 v60, v71, 0xb9fd, -v60
	v_mul_f16_e32 v69, 0x3a95, v72
	v_fmac_f16_e32 v73, 0xb9fd, v74
	v_mul_f16_e32 v75, 0x3a95, v27
	v_add_f16_e32 v49, v49, v50
	v_add_f16_e32 v42, v60, v42
	v_fmamk_f16 v50, v71, 0x388b, v69
	v_add_f16_e32 v43, v73, v43
	v_fma_f16 v60, v74, 0x388b, -v75
	v_mul_f16_e32 v73, 0xb3a8, v72
	v_mul_f16_e32 v72, 0xbb7b, v72
	v_add_f16_e32 v50, v50, v51
	v_fma_f16 v51, v71, 0x388b, -v69
	v_add_f16_e32 v52, v60, v52
	v_mul_f16_e32 v69, 0xbb7b, v27
	v_fmamk_f16 v60, v71, 0xb5ac, v72
	v_pk_mul_f16 v36, 0xbbc4, v36 op_sel_hi:[0,1]
	v_bfi_b32 v40, 0xffff, v40, v53
	v_pack_b32_f16 v53, v53, v63
	v_pack_b32_f16 v50, v50, v52
	v_add_f16_e32 v56, v60, v56
	v_fma_f16 v60, v74, 0xb5ac, -v69
	v_pack_b32_f16 v48, v48, v49
	ds_write2_b32 v61, v40, v53 offset0:1 offset1:2
	v_pk_mul_f16 v40, 0x3b15, v59 op_sel_hi:[0,1]
	v_pk_mul_f16 v52, 0xb9fd, v65 op_sel_hi:[0,1]
	v_add_f16_e32 v58, v60, v58
	v_pk_fma_f16 v60, 0xb3a8, v33, v36 op_sel:[0,0,1] op_sel_hi:[0,1,0]
	v_pk_fma_f16 v33, 0xb3a8, v33, v36 op_sel:[0,0,1] op_sel_hi:[0,1,0] neg_lo:[0,1,0] neg_hi:[0,1,0]
	v_pk_fma_f16 v36, 0x3770, v57, v40 op_sel:[0,0,1] op_sel_hi:[0,1,0]
	v_pk_fma_f16 v40, 0x3770, v57, v40 op_sel:[0,0,1] op_sel_hi:[0,1,0] neg_lo:[0,1,0] neg_hi:[0,1,0]
	v_pk_fma_f16 v57, 0xb94e, v64, v52 op_sel:[0,0,1] op_sel_hi:[0,1,0]
	v_alignbit_b32 v53, s0, v60, 16
	v_pk_mul_f16 v37, 0x388b, v37 op_sel_hi:[0,1]
	v_fma_f16 v32, v31, 0xb9fd, -v32
	v_pk_mul_f16 v31, 0xb5ac, v31 op_sel_hi:[0,1]
	v_add_f16_e32 v44, v51, v44
	v_pk_add_f16 v49, v53, v26
	v_alignbit_b32 v53, s0, v26, 16
	v_pk_add_f16 v26, v33, v26 op_sel:[0,1] op_sel_hi:[1,0]
	v_alignbit_b32 v33, s0, v36, 16
	v_pk_mul_f16 v51, 0xbbc43b15, v71
	v_fmac_f16_e32 v75, 0x388b, v74
	v_pk_add_f16 v53, v60, v53
	v_pk_add_f16 v26, v40, v26
	;; [unrolled: 1-line block ×3, first 2 shown]
	v_alignbit_b32 v40, s0, v57, 16
	v_pk_fma_f16 v49, 0xb94e, v64, v52 op_sel:[0,0,1] op_sel_hi:[0,1,0] neg_lo:[0,1,0] neg_hi:[0,1,0]
	v_pk_fma_f16 v52, 0x3a95, v54, v37 op_sel:[0,0,1] op_sel_hi:[0,1,0]
	v_pk_add_f16 v36, v36, v53
	v_pk_fma_f16 v37, 0x3a95, v54, v37 op_sel:[0,0,1] op_sel_hi:[0,1,0] neg_lo:[0,1,0] neg_hi:[0,1,0]
	v_pk_add_f16 v33, v40, v33
	v_pk_add_f16 v26, v49, v26
	v_alignbit_b32 v40, s0, v52, 16
	v_pk_fma_f16 v49, 0xbb7b, v67, v31 op_sel:[0,0,1] op_sel_hi:[0,1,0]
	v_pk_add_f16 v36, v57, v36
	v_pk_mul_f16 v53, 0x2fb7, v71 op_sel_hi:[0,1]
	v_pk_add_f16 v26, v37, v26
	v_pk_add_f16 v33, v40, v33
	v_alignbit_b32 v37, s0, v49, 16
	v_pk_fma_f16 v31, 0xbb7b, v67, v31 op_sel:[0,0,1] op_sel_hi:[0,1,0] neg_lo:[0,1,0] neg_hi:[0,1,0]
	v_pk_fma_f16 v40, 0x3bf1, v27, v53 op_sel:[0,0,1] op_sel_hi:[0,1,0]
	v_pk_add_f16 v36, v52, v36
	v_pk_fma_f16 v27, 0x3bf1, v27, v53 op_sel:[0,0,1] op_sel_hi:[0,1,0] neg_lo:[0,1,0] neg_hi:[0,1,0]
	v_pk_add_f16 v33, v37, v33
	v_pk_add_f16 v26, v31, v26
	v_alignbit_b32 v31, s0, v40, 16
	v_pk_add_f16 v36, v49, v36
	v_bfi_b32 v37, 0xffff, v73, v55
	v_fma_f16 v72, v71, 0xb5ac, -v72
	v_fmac_f16_e32 v69, 0xb5ac, v74
	v_fmac_f16_e32 v76, 0x3b15, v74
	v_pk_add_f16 v31, v31, v33
	v_pk_add_f16 v26, v27, v26
	v_pk_add_f16 v27, v40, v36
	v_pk_add_f16 v33, v66, v37 neg_lo:[0,1] neg_hi:[0,1]
	v_pk_add_f16 v36, v68, v55
	v_bfi_b32 v32, 0xffff, v32, v51
	v_pack_b32_f16 v37, v38, v70
	v_add_f16_e32 v45, v75, v45
	v_add_f16_e32 v46, v72, v46
	;; [unrolled: 1-line block ×3, first 2 shown]
	ds_write2_b32 v61, v48, v50 offset0:3 offset1:4
	v_pack_b32_f16 v48, v56, v58
	v_add_f16_e32 v41, v76, v41
	v_alignbit_b32 v27, v27, v26, 16
	v_pack_b32_f16 v26, v31, v26
	v_bfi_b32 v31, 0xffff, v33, v36
	v_pk_add_f16 v32, v32, v37
	ds_write2_b32 v61, v34, v48 offset1:5
	v_pack_b32_f16 v33, v44, v45
	v_pack_b32_f16 v34, v46, v62
	;; [unrolled: 1-line block ×4, first 2 shown]
	v_pk_add_f16 v31, v31, v32
	s_mov_b32 s1, exec_lo
	ds_write2_b32 v61, v26, v27 offset0:6 offset1:7
	ds_write2_b32 v61, v34, v33 offset0:8 offset1:9
	;; [unrolled: 1-line block ×3, first 2 shown]
	ds_write_b32 v61, v31 offset:48
	v_cmpx_eq_u32_e32 0, v5
	s_cbranch_execz .LBB0_17
; %bb.16:
	v_pk_add_f16 v26, v8, v25
	v_pk_add_f16 v37, v24, v15
	v_pk_add_f16 v27, v24, v15 neg_lo:[0,1] neg_hi:[0,1]
	v_pk_add_f16 v38, v25, v14
	v_pk_add_f16 v31, v25, v14 neg_lo:[0,1] neg_hi:[0,1]
	v_pk_add_f16 v24, v26, v24
	v_pk_add_f16 v34, v22, v17
	v_pk_add_f16 v25, v22, v17 neg_lo:[0,1] neg_hi:[0,1]
	v_pk_add_f16 v32, v21, v18
	v_pk_add_f16 v36, v23, v16
	;; [unrolled: 1-line block ×3, first 2 shown]
	v_pk_add_f16 v24, v21, v18 neg_lo:[0,1] neg_hi:[0,1]
	v_pk_add_f16 v26, v23, v16 neg_lo:[0,1] neg_hi:[0,1]
	v_pk_add_f16 v33, v20, v19
	v_pk_add_f16 v23, v20, v19 neg_lo:[0,1] neg_hi:[0,1]
	v_pk_add_f16 v22, v40, v22
	v_lshrrev_b32_e32 v40, 16, v38
	v_mul_f16_e32 v41, 0xb94e, v31
	v_lshrrev_b32_e32 v42, 16, v37
	v_mul_f16_e32 v43, 0x3bf1, v27
	v_pk_add_f16 v21, v22, v21
	v_lshrrev_b32_e32 v22, 16, v36
	v_fma_f16 v49, v40, 0xb9fd, -v41
	v_mul_f16_e32 v44, 0xba95, v26
	v_fma_f16 v51, v42, 0x2fb7, -v43
	v_pk_add_f16 v20, v21, v20
	v_lshrrev_b32_e32 v45, 16, v34
	v_add_f16_sdwa v49, v8, v49 dst_sel:DWORD dst_unused:UNUSED_PAD src0_sel:WORD_1 src1_sel:DWORD
	v_mul_f16_e32 v46, 0x33a8, v25
	v_mul_f16_sdwa v50, v31, v9 dst_sel:DWORD dst_unused:UNUSED_PAD src0_sel:WORD_1 src1_sel:DWORD
	v_pk_add_f16 v19, v20, v19
	v_fma_f16 v52, v22, 0x388b, -v44
	v_add_f16_e32 v49, v49, v51
	v_lshrrev_b32_e32 v21, 16, v32
	v_mul_f16_e32 v47, 0x3770, v24
	v_pk_add_f16 v18, v18, v19
	v_mul_f16_sdwa v19, v27, v35 dst_sel:DWORD dst_unused:UNUSED_PAD src0_sel:WORD_1 src1_sel:DWORD
	v_fmamk_f16 v51, v38, 0xb9fd, v50
	v_fma_f16 v53, v45, 0xbbc4, -v46
	v_add_f16_e32 v49, v49, v52
	v_pk_add_f16 v17, v17, v18
	v_lshrrev_b32_e32 v48, 16, v33
	v_mul_f16_e32 v20, 0xbb7b, v23
	v_mul_f16_sdwa v35, v26, v13 dst_sel:DWORD dst_unused:UNUSED_PAD src0_sel:WORD_1 src1_sel:DWORD
	v_add_f16_e32 v51, v8, v51
	v_pk_add_f16 v16, v16, v17
	v_fmamk_f16 v17, v37, 0x2fb7, v19
	v_fma_f16 v52, v21, 0x3b15, -v47
	v_add_f16_e32 v49, v49, v53
	v_mul_f16_sdwa v18, v25, v39 dst_sel:DWORD dst_unused:UNUSED_PAD src0_sel:WORD_1 src1_sel:DWORD
	v_pk_add_f16 v15, v15, v16
	v_fmamk_f16 v16, v36, 0x388b, v35
	v_add_f16_e32 v17, v51, v17
	v_fma_f16 v51, v48, 0xb5ac, -v20
	v_add_f16_e32 v49, v49, v52
	v_pk_add_f16 v14, v14, v15
	v_mul_f16_e32 v15, 0xbb7b, v31
	v_add_f16_e32 v16, v17, v16
	v_fmamk_f16 v17, v34, 0xbbc4, v18
	v_mul_f16_sdwa v52, v24, v30 dst_sel:DWORD dst_unused:UNUSED_PAD src0_sel:WORD_1 src1_sel:DWORD
	v_add_f16_e32 v49, v49, v51
	v_fma_f16 v51, v40, 0xb5ac, -v15
	v_mul_f16_e32 v53, 0x394e, v27
	v_add_f16_e32 v16, v16, v17
	v_fmamk_f16 v17, v32, 0x3b15, v52
	v_mul_f16_sdwa v54, v23, v10 dst_sel:DWORD dst_unused:UNUSED_PAD src0_sel:WORD_1 src1_sel:DWORD
	v_add_f16_sdwa v51, v8, v51 dst_sel:DWORD dst_unused:UNUSED_PAD src0_sel:WORD_1 src1_sel:DWORD
	v_fma_f16 v55, v42, 0xb9fd, -v53
	v_mul_f16_e32 v56, 0x3770, v26
	v_add_f16_e32 v16, v16, v17
	v_fmamk_f16 v17, v33, 0xb5ac, v54
	v_mul_f16_sdwa v57, v31, v10 dst_sel:DWORD dst_unused:UNUSED_PAD src0_sel:WORD_1 src1_sel:DWORD
	v_add_f16_e32 v51, v51, v55
	v_fma_f16 v55, v22, 0x3b15, -v56
	v_mul_f16_e32 v58, 0xbbf1, v25
	v_add_f16_e32 v16, v16, v17
	v_fmamk_f16 v17, v38, 0xb5ac, v57
	v_mul_f16_sdwa v29, v27, v29 dst_sel:DWORD dst_unused:UNUSED_PAD src0_sel:WORD_1 src1_sel:DWORD
	v_add_f16_e32 v51, v51, v55
	;; [unrolled: 6-line block ×4, first 2 shown]
	v_mul_f16_e32 v55, 0xbbf1, v31
	v_fma_f16 v64, v48, 0x388b, -v62
	v_add_f16_e32 v17, v17, v60
	v_fmamk_f16 v60, v34, 0x2fb7, v63
	v_mul_f16_sdwa v39, v24, v39 dst_sel:DWORD dst_unused:UNUSED_PAD src0_sel:WORD_1 src1_sel:DWORD
	v_fma_f16 v65, v40, 0x2fb7, -v55
	v_mul_f16_e32 v66, 0xb3a8, v27
	v_add_f16_e32 v51, v51, v64
	v_add_f16_e32 v17, v17, v60
	v_fmamk_f16 v60, v32, 0xbbc4, v39
	v_add_f16_sdwa v64, v8, v65 dst_sel:DWORD dst_unused:UNUSED_PAD src0_sel:WORD_1 src1_sel:DWORD
	v_fma_f16 v65, v42, 0xbbc4, -v66
	v_mul_f16_e32 v67, 0x3b7b, v26
	v_mul_f16_e32 v69, 0x3770, v25
	v_add_f16_e32 v17, v17, v60
	v_mul_f16_sdwa v60, v31, v7 dst_sel:DWORD dst_unused:UNUSED_PAD src0_sel:WORD_1 src1_sel:DWORD
	v_add_f16_e32 v64, v64, v65
	v_fma_f16 v65, v22, 0xb5ac, -v67
	v_mov_b32_e32 v68, 0x3a95
	v_mul_f16_sdwa v71, v27, v12 dst_sel:DWORD dst_unused:UNUSED_PAD src0_sel:WORD_1 src1_sel:DWORD
	v_fmamk_f16 v70, v38, 0x2fb7, v60
	v_mul_f16_e32 v72, 0xba95, v24
	v_add_f16_e32 v64, v64, v65
	v_fma_f16 v65, v45, 0x3b15, -v69
	v_mul_f16_sdwa v68, v23, v68 dst_sel:DWORD dst_unused:UNUSED_PAD src0_sel:WORD_1 src1_sel:DWORD
	v_add_f16_e32 v70, v8, v70
	v_fmamk_f16 v73, v37, 0xbbc4, v71
	v_mul_f16_sdwa v28, v26, v28 dst_sel:DWORD dst_unused:UNUSED_PAD src0_sel:WORD_1 src1_sel:DWORD
	v_add_f16_e32 v64, v64, v65
	v_fma_f16 v65, v21, 0x388b, -v72
	v_fmamk_f16 v74, v33, 0x388b, v68
	v_add_f16_e32 v70, v70, v73
	v_fmamk_f16 v73, v36, 0xb5ac, v28
	v_mul_f16_sdwa v30, v25, v30 dst_sel:DWORD dst_unused:UNUSED_PAD src0_sel:WORD_1 src1_sel:DWORD
	v_add_f16_e32 v64, v64, v65
	v_mul_f16_e32 v65, 0xba95, v31
	v_add_f16_e32 v17, v17, v74
	v_add_f16_e32 v70, v70, v73
	v_fmamk_f16 v73, v34, 0x3b15, v30
	v_mul_f16_sdwa v74, v24, v13 dst_sel:DWORD dst_unused:UNUSED_PAD src0_sel:WORD_1 src1_sel:DWORD
	v_fma_f16 v76, v40, 0x388b, -v65
	v_mul_f16_e32 v77, 0xbb7b, v27
	v_mul_f16_e32 v80, 0xb3a8, v26
	v_add_f16_e32 v70, v70, v73
	v_fmamk_f16 v73, v32, 0x388b, v74
	v_add_f16_sdwa v76, v8, v76 dst_sel:DWORD dst_unused:UNUSED_PAD src0_sel:WORD_1 src1_sel:DWORD
	v_fma_f16 v79, v42, 0xb5ac, -v77
	v_fmac_f16_e32 v41, 0xb9fd, v40
	v_mul_f16_e32 v75, 0xb94e, v23
	v_add_f16_e32 v70, v70, v73
	v_pk_mul_f16 v82, 0x3b15388b, v38
	v_add_f16_e32 v73, v76, v79
	v_fma_f16 v76, v22, 0xbbc4, -v80
	v_mul_f16_e32 v79, 0x394e, v25
	v_mul_f16_e32 v89, 0x3bf1, v24
	v_add_f16_sdwa v41, v8, v41 dst_sel:DWORD dst_unused:UNUSED_PAD src0_sel:WORD_1 src1_sel:DWORD
	v_fmac_f16_e32 v43, 0x2fb7, v42
	v_add_f16_e32 v73, v73, v76
	v_fma_f16 v76, v45, 0xb9fd, -v79
	v_fma_f16 v81, v48, 0xb9fd, -v75
	v_pk_fma_f16 v83, 0xba95b770, v31, v82 op_sel:[0,0,1] op_sel_hi:[1,1,0] neg_lo:[0,1,0] neg_hi:[0,1,0]
	v_pk_mul_f16 v84, 0x388bb5ac, v37
	v_pk_fma_f16 v82, 0xba95b770, v31, v82 op_sel:[0,0,1] op_sel_hi:[1,1,0]
	v_add_f16_e32 v73, v73, v76
	v_fma_f16 v92, v21, 0x2fb7, -v89
	v_mul_f16_e32 v93, 0x3770, v23
	v_add_f16_e32 v41, v41, v43
	v_fmac_f16_e32 v44, 0x388b, v22
	v_pk_fma_f16 v86, 0xbb7bba95, v27, v84 op_sel:[0,0,1] op_sel_hi:[1,1,0] neg_lo:[0,1,0] neg_hi:[0,1,0]
	v_bfi_b32 v87, 0xffff, v83, v82
	v_pk_fma_f16 v84, 0xbb7bba95, v27, v84 op_sel:[0,0,1] op_sel_hi:[1,1,0]
	v_pk_mul_f16 v88, 0x2fb7bbc4, v36
	v_add_f16_e32 v64, v64, v81
	v_add_f16_e32 v73, v73, v92
	v_fma_f16 v81, v48, 0x3b15, -v93
	v_mul_f16_sdwa v6, v31, v6 dst_sel:DWORD dst_unused:UNUSED_PAD src0_sel:WORD_1 src1_sel:DWORD
	v_add_f16_e32 v41, v41, v44
	v_fma_f16 v44, v38, 0xb5ac, -v57
	v_mul_f16_sdwa v78, v23, v9 dst_sel:DWORD dst_unused:UNUSED_PAD src0_sel:WORD_1 src1_sel:DWORD
	v_pk_add_f16 v76, v8, v87 op_sel:[1,0] op_sel_hi:[0,1]
	v_bfi_b32 v87, 0xffff, v86, v84
	v_pk_fma_f16 v90, 0xb3a8bbf1, v26, v88 op_sel:[0,0,1] op_sel_hi:[1,1,0] neg_lo:[0,1,0] neg_hi:[0,1,0]
	v_pk_fma_f16 v88, 0xb3a8bbf1, v26, v88 op_sel:[0,0,1] op_sel_hi:[1,1,0]
	v_pk_mul_f16 v91, 0xb5acb9fd, v34
	v_add_f16_e32 v73, v73, v81
	v_fmamk_f16 v81, v38, 0x3b15, v6
	v_mul_f16_sdwa v13, v27, v13 dst_sel:DWORD dst_unused:UNUSED_PAD src0_sel:WORD_1 src1_sel:DWORD
	v_fmac_f16_e32 v46, 0xbbc4, v45
	v_fmac_f16_e32 v15, 0xb5ac, v40
	v_add_f16_e32 v44, v8, v44
	v_fma_f16 v29, v37, 0xb9fd, -v29
	v_fmamk_f16 v85, v33, 0xb9fd, v78
	v_pk_add_f16 v76, v76, v87
	v_bfi_b32 v87, 0xffff, v90, v88
	v_pk_fma_f16 v94, 0x394ebb7b, v25, v91 op_sel:[0,0,1] op_sel_hi:[1,1,0] neg_lo:[0,1,0] neg_hi:[0,1,0]
	v_pk_fma_f16 v91, 0x394ebb7b, v25, v91 op_sel:[0,0,1] op_sel_hi:[1,1,0]
	v_add_f16_e32 v81, v8, v81
	v_fmamk_f16 v95, v37, 0x388b, v13
	v_mul_f16_sdwa v7, v26, v7 dst_sel:DWORD dst_unused:UNUSED_PAD src0_sel:WORD_1 src1_sel:DWORD
	v_add_f16_e32 v41, v41, v46
	v_fmac_f16_e32 v47, 0x3b15, v21
	v_fma_f16 v46, v38, 0x2fb7, -v60
	v_add_f16_sdwa v15, v8, v15 dst_sel:DWORD dst_unused:UNUSED_PAD src0_sel:WORD_1 src1_sel:DWORD
	v_fmac_f16_e32 v53, 0xb9fd, v42
	v_add_f16_e32 v29, v44, v29
	v_fma_f16 v44, v36, 0x3b15, -v61
	v_fmac_f16_e32 v65, 0x388b, v40
	v_pk_add_f16 v76, v76, v87
	v_bfi_b32 v87, 0xffff, v94, v91
	v_add_f16_e32 v70, v70, v85
	v_pk_mul_f16 v85, 0xb9fd2fb7, v32
	v_add_f16_e32 v81, v81, v95
	v_fmamk_f16 v95, v36, 0x2fb7, v7
	v_mul_f16_sdwa v10, v25, v10 dst_sel:DWORD dst_unused:UNUSED_PAD src0_sel:WORD_1 src1_sel:DWORD
	v_add_f16_e32 v41, v41, v47
	v_fmac_f16_e32 v20, 0xb5ac, v48
	v_add_f16_e32 v46, v8, v46
	v_fma_f16 v47, v37, 0xbbc4, -v71
	v_add_f16_e32 v15, v15, v53
	v_add_f16_e32 v29, v29, v44
	v_fma_f16 v44, v34, 0x2fb7, -v63
	v_add_f16_sdwa v53, v8, v65 dst_sel:DWORD dst_unused:UNUSED_PAD src0_sel:WORD_1 src1_sel:DWORD
	v_fmac_f16_e32 v77, 0xb5ac, v42
	v_pk_add_f16 v76, v76, v87
	v_pk_fma_f16 v87, 0x3bf1b94e, v24, v85 op_sel:[0,0,1] op_sel_hi:[1,1,0] neg_lo:[0,1,0] neg_hi:[0,1,0]
	v_pk_fma_f16 v85, 0x3bf1b94e, v24, v85 op_sel:[0,0,1] op_sel_hi:[1,1,0]
	v_pk_mul_f16 v92, 0xbbc43b15, v33
	v_add_f16_e32 v81, v81, v95
	v_fmamk_f16 v95, v34, 0xb5ac, v10
	v_mul_f16_sdwa v9, v24, v9 dst_sel:DWORD dst_unused:UNUSED_PAD src0_sel:WORD_1 src1_sel:DWORD
	v_add_f16_e32 v20, v41, v20
	v_add_f16_e32 v41, v46, v47
	v_fma_f16 v28, v36, 0xb5ac, -v28
	v_add_f16_e32 v29, v29, v44
	v_add_f16_e32 v44, v53, v77
	v_fmac_f16_e32 v80, 0xbbc4, v22
	v_bfi_b32 v96, 0xffff, v87, v85
	v_pk_fma_f16 v97, 0x3770b3a8, v23, v92 op_sel:[0,0,1] op_sel_hi:[1,1,0] neg_lo:[0,1,0] neg_hi:[0,1,0]
	v_pk_fma_f16 v92, 0x3770b3a8, v23, v92 op_sel:[0,0,1] op_sel_hi:[1,1,0]
	v_add_f16_e32 v81, v81, v95
	v_fmamk_f16 v95, v32, 0xb9fd, v9
	v_mul_f16_sdwa v12, v23, v12 dst_sel:DWORD dst_unused:UNUSED_PAD src0_sel:WORD_1 src1_sel:DWORD
	v_add_f16_e32 v28, v41, v28
	v_fma_f16 v30, v34, 0x3b15, -v30
	v_add_f16_e32 v44, v44, v80
	v_fmac_f16_e32 v79, 0xb9fd, v45
	v_pk_add_f16 v76, v76, v96
	v_bfi_b32 v96, 0xffff, v97, v92
	v_add_f16_e32 v43, v81, v95
	v_fmamk_f16 v81, v33, 0xbbc4, v12
	v_mul_f16_e32 v40, 0x2fb7, v40
	v_add_f16_e32 v28, v28, v30
	v_fma_f16 v30, v32, 0x388b, -v74
	v_fma_f16 v39, v32, 0xbbc4, -v39
	v_add_f16_e32 v44, v44, v79
	v_fmac_f16_e32 v89, 0x2fb7, v21
	v_pk_add_f16 v76, v76, v96
	v_add_f16_e32 v43, v43, v81
	v_mul_f16_e32 v41, 0x3b15, v45
	v_mul_f16_e32 v46, 0x388b, v21
	v_fma_f16 v47, v38, 0xb9fd, -v50
	v_add_f16_e32 v28, v28, v30
	v_fma_f16 v30, v33, 0xb9fd, -v78
	v_pk_add_f16 v40, v40, v55
	v_fma_f16 v6, v38, 0x3b15, -v6
	v_pk_mul_f16 v38, 0xbbc4, v38 op_sel_hi:[0,1]
	v_fmac_f16_e32 v58, 0x2fb7, v45
	v_fmac_f16_e32 v59, 0xbbc4, v21
	v_mul_f16_e32 v42, 0xbbc4, v42
	v_mul_f16_e32 v45, 0xb9fd, v48
	v_add_f16_e32 v21, v29, v39
	v_fma_f16 v29, v33, 0x388b, -v68
	v_add_f16_e32 v39, v44, v89
	v_fmac_f16_e32 v93, 0x3b15, v48
	v_lshl_add_u32 v0, v0, 2, 0
	v_fma_f16 v19, v37, 0x2fb7, -v19
	v_add_f16_e32 v28, v28, v30
	v_bfi_b32 v30, 0xffff, v40, v83
	v_pk_add_f16 v40, v41, v69
	v_pk_add_f16 v41, v46, v72
	v_fma_f16 v13, v37, 0x388b, -v13
	v_alignbit_b32 v44, v73, v76, 16
	v_pack_b32_f16 v43, v43, v76
	v_pk_mul_f16 v37, 0x3b15, v37 op_sel_hi:[0,1]
	v_pk_fma_f16 v46, 0xb3a8, v31, v38 op_sel:[0,0,1] op_sel_hi:[0,1,0]
	v_pk_fma_f16 v31, 0xb3a8, v31, v38 op_sel:[0,0,1] op_sel_hi:[0,1,0] neg_lo:[0,1,0] neg_hi:[0,1,0]
	v_add_f16_e32 v21, v21, v29
	v_add_f16_e32 v29, v39, v93
	v_pk_add_f16 v39, v42, v66
	v_pk_add_f16 v42, v45, v75
	v_pack_b32_f16 v17, v17, v51
	v_pack_b32_f16 v45, v70, v64
	v_fma_f16 v35, v36, 0x388b, -v35
	v_fma_f16 v7, v36, 0x2fb7, -v7
	ds_write2_b32 v0, v43, v44 offset0:170 offset1:171
	ds_write2_b32 v0, v45, v17 offset0:172 offset1:173
	v_pk_fma_f16 v17, 0x3770, v27, v37 op_sel:[0,0,1] op_sel_hi:[0,1,0]
	v_pk_mul_f16 v36, 0xb9fd, v36 op_sel_hi:[0,1]
	v_pk_add_f16 v31, v8, v31 op_sel:[1,0] op_sel_hi:[0,1]
	v_pk_fma_f16 v27, 0x3770, v27, v37 op_sel:[0,0,1] op_sel_hi:[0,1,0] neg_lo:[0,1,0] neg_hi:[0,1,0]
	v_pack_b32_f16 v6, v82, v6
	v_fma_f16 v18, v34, 0xbbc4, -v18
	v_fma_f16 v10, v34, 0xb5ac, -v10
	v_add_f16_sdwa v43, v8, v46 dst_sel:DWORD dst_unused:UNUSED_PAD src0_sel:DWORD src1_sel:WORD_1
	v_pk_mul_f16 v34, 0x388b, v34 op_sel_hi:[0,1]
	v_pk_fma_f16 v38, 0xb94e, v26, v36 op_sel:[0,0,1] op_sel_hi:[0,1,0]
	v_pk_add_f16 v27, v31, v27
	v_pk_fma_f16 v26, 0xb94e, v26, v36 op_sel:[0,0,1] op_sel_hi:[0,1,0] neg_lo:[0,1,0] neg_hi:[0,1,0]
	v_pack_b32_f16 v44, v46, v47
	v_fmac_f16_e32 v56, 0x3b15, v22
	v_mul_f16_e32 v22, 0xb5ac, v22
	v_pk_add_f16 v6, v8, v6 op_sel:[1,0] op_sel_hi:[0,1]
	v_pack_b32_f16 v13, v84, v13
	v_add_f16_sdwa v43, v43, v17 dst_sel:DWORD dst_unused:UNUSED_PAD src0_sel:DWORD src1_sel:WORD_1
	v_pk_fma_f16 v37, 0x3a95, v25, v34 op_sel:[0,0,1] op_sel_hi:[0,1,0]
	v_pk_add_f16 v26, v27, v26
	v_pk_fma_f16 v25, 0x3a95, v25, v34 op_sel:[0,0,1] op_sel_hi:[0,1,0] neg_lo:[0,1,0] neg_hi:[0,1,0]
	v_pk_add_f16 v27, v8, v44 op_sel:[1,0] op_sel_hi:[0,1]
	v_pack_b32_f16 v17, v17, v19
	v_pk_add_f16 v22, v22, v67
	v_bfi_b32 v39, 0xffff, v39, v86
	v_pk_add_f16 v8, v8, v30 op_sel:[1,0] op_sel_hi:[0,1]
	v_pk_add_f16 v6, v6, v13
	v_pack_b32_f16 v7, v88, v7
	v_add_f16_e32 v15, v15, v56
	v_fma_f16 v50, v32, 0x3b15, -v52
	v_fma_f16 v9, v32, 0xb9fd, -v9
	v_pk_mul_f16 v32, 0xb5ac, v32 op_sel_hi:[0,1]
	v_pk_add_f16 v25, v26, v25
	v_pk_add_f16 v17, v27, v17
	v_pack_b32_f16 v26, v38, v35
	v_bfi_b32 v22, 0xffff, v22, v90
	v_pk_add_f16 v8, v8, v39
	v_pk_add_f16 v6, v6, v7
	v_pack_b32_f16 v7, v91, v10
	v_add_f16_sdwa v43, v43, v38 dst_sel:DWORD dst_unused:UNUSED_PAD src0_sel:DWORD src1_sel:WORD_1
	v_add_f16_e32 v15, v15, v58
	v_fma_f16 v52, v33, 0xb5ac, -v54
	v_fma_f16 v12, v33, 0xbbc4, -v12
	v_pk_mul_f16 v33, 0x2fb7, v33 op_sel_hi:[0,1]
	v_pk_fma_f16 v31, 0xbb7b, v24, v32 op_sel:[0,0,1] op_sel_hi:[0,1,0]
	v_pk_fma_f16 v13, 0xbb7b, v24, v32 op_sel:[0,0,1] op_sel_hi:[0,1,0] neg_lo:[0,1,0] neg_hi:[0,1,0]
	v_pk_add_f16 v17, v17, v26
	v_pack_b32_f16 v18, v37, v18
	v_bfi_b32 v40, 0xffff, v40, v94
	v_pk_add_f16 v8, v8, v22
	v_pk_add_f16 v6, v6, v7
	v_pack_b32_f16 v7, v85, v9
	v_add_f16_sdwa v43, v43, v37 dst_sel:DWORD dst_unused:UNUSED_PAD src0_sel:DWORD src1_sel:WORD_1
	v_add_f16_e32 v15, v15, v59
	v_fmac_f16_e32 v62, 0x388b, v48
	v_pk_fma_f16 v36, 0x3bf1, v23, v33 op_sel:[0,0,1] op_sel_hi:[0,1,0]
	v_pk_add_f16 v10, v25, v13
	v_pk_add_f16 v13, v17, v18
	v_pack_b32_f16 v17, v31, v50
	v_bfi_b32 v41, 0xffff, v41, v87
	v_pk_fma_f16 v9, 0x3bf1, v23, v33 op_sel:[0,0,1] op_sel_hi:[0,1,0] neg_lo:[0,1,0] neg_hi:[0,1,0]
	v_pk_add_f16 v8, v8, v40
	v_pk_add_f16 v18, v6, v7
	v_pack_b32_f16 v12, v92, v12
	v_add_f16_sdwa v19, v43, v31 dst_sel:DWORD dst_unused:UNUSED_PAD src0_sel:DWORD src1_sel:WORD_1
	v_add_f16_e32 v15, v15, v62
	v_pk_add_f16 v13, v13, v17
	v_pack_b32_f16 v17, v36, v52
	v_bfi_b32 v42, 0xffff, v42, v97
	v_pk_add_f16 v6, v10, v9
	v_pk_add_f16 v10, v8, v41
	;; [unrolled: 1-line block ×3, first 2 shown]
	v_pack_b32_f16 v16, v16, v49
	v_add_f16_sdwa v19, v19, v36 dst_sel:DWORD dst_unused:UNUSED_PAD src0_sel:DWORD src1_sel:WORD_1
	v_pk_add_f16 v7, v13, v17
	v_pack_b32_f16 v9, v15, v28
	v_pack_b32_f16 v8, v20, v21
	v_pk_add_f16 v10, v10, v42
	v_alignbit_b32 v12, v12, v12, 16
	ds_write2_b32 v0, v14, v16 offset0:169 offset1:174
	ds_write_b16 v0, v19 offset:700
	ds_write_b128 v0, v[6:9] offset:702
	ds_write_b32 v0, v10 offset:718
	ds_write_b16 v0, v29 offset:722
	ds_write_b32 v0, v12 offset:724
.LBB0_17:
	s_or_b32 exec_lo, exec_lo, s1
	v_add_nc_u16 v9, v5, 0x4e
	v_add_nc_u16 v8, v5, 0x41
	;; [unrolled: 1-line block ×5, first 2 shown]
	v_and_b32_e32 v14, 0xff, v9
	v_and_b32_e32 v15, 0xff, v8
	;; [unrolled: 1-line block ×5, first 2 shown]
	v_mul_lo_u16 v14, 0x4f, v14
	v_mul_lo_u16 v15, 0x4f, v15
	;; [unrolled: 1-line block ×5, first 2 shown]
	v_lshrrev_b16 v14, 10, v14
	v_lshrrev_b16 v15, 10, v15
	;; [unrolled: 1-line block ×5, first 2 shown]
	v_mul_lo_u16 v14, v14, 13
	v_mul_lo_u16 v15, v15, 13
	v_mov_b32_e32 v6, 0
	v_mul_lo_u16 v16, v16, 13
	v_mul_lo_u16 v17, v17, 13
	;; [unrolled: 1-line block ×3, first 2 shown]
	v_mov_b32_e32 v18, 2
	v_sub_nc_u16 v9, v9, v14
	v_sub_nc_u16 v8, v8, v15
	v_lshlrev_b64 v[6:7], 2, v[5:6]
	v_sub_nc_u16 v10, v10, v16
	v_sub_nc_u16 v12, v12, v17
	;; [unrolled: 1-line block ×3, first 2 shown]
	v_lshlrev_b32_sdwa v19, v18, v9 dst_sel:DWORD dst_unused:UNUSED_PAD src0_sel:DWORD src1_sel:BYTE_0
	v_lshlrev_b32_sdwa v20, v18, v8 dst_sel:DWORD dst_unused:UNUSED_PAD src0_sel:DWORD src1_sel:BYTE_0
	;; [unrolled: 1-line block ×3, first 2 shown]
	v_add_co_u32 v6, s0, s12, v6
	v_lshlrev_b32_sdwa v22, v18, v12 dst_sel:DWORD dst_unused:UNUSED_PAD src0_sel:DWORD src1_sel:BYTE_0
	v_lshlrev_b32_sdwa v23, v18, v0 dst_sel:DWORD dst_unused:UNUSED_PAD src0_sel:DWORD src1_sel:BYTE_0
	s_waitcnt lgkmcnt(0)
	s_barrier
	buffer_gl0_inv
	v_add_co_ci_u32_e64 v7, s0, s13, v7, s0
	s_clause 0x5
	global_load_dword v24, v19, s[12:13]
	global_load_dword v25, v20, s[12:13]
	;; [unrolled: 1-line block ×5, first 2 shown]
	global_load_dword v29, v[6:7], off
	v_lshlrev_b32_e32 v0, 2, v5
	v_add_nc_u32_e32 v30, 0, v11
	v_add3_u32 v6, 0, v0, v11
	ds_read_b32 v31, v6 offset:676
	ds_read2_b32 v[7:8], v6 offset0:143 offset1:156
	v_add_nc_u32_e32 v0, v30, v0
	ds_read2_b32 v[9:10], v6 offset0:117 offset1:130
	ds_read2_b32 v[11:12], v6 offset0:91 offset1:104
	ds_read_b32 v32, v0
	ds_read2_b32 v[13:14], v6 offset0:13 offset1:26
	ds_read2_b32 v[15:16], v6 offset0:39 offset1:52
	;; [unrolled: 1-line block ×3, first 2 shown]
	v_add_nc_u32_e32 v23, v30, v23
	v_add_nc_u32_e32 v22, v30, v22
	;; [unrolled: 1-line block ×5, first 2 shown]
	s_waitcnt vmcnt(0) lgkmcnt(0)
	s_barrier
	buffer_gl0_inv
	v_pk_mul_f16 v30, v31, v24 op_sel:[0,1]
	v_pk_mul_f16 v33, v8, v25 op_sel:[0,1]
	v_pk_mul_f16 v34, v7, v26 op_sel:[0,1]
	v_pk_mul_f16 v35, v27, v10 op_sel:[0,1]
	v_pk_mul_f16 v36, v28, v9 op_sel:[0,1]
	v_pk_mul_f16 v37, v29, v11 op_sel:[0,1]
	v_pk_mul_f16 v38, v29, v12 op_sel:[0,1]
	v_pk_fma_f16 v39, v31, v24, v30 op_sel:[0,0,1] op_sel_hi:[1,1,0]
	v_pk_fma_f16 v24, v31, v24, v30 op_sel:[0,0,1] op_sel_hi:[1,0,0] neg_lo:[0,0,1] neg_hi:[0,0,1]
	v_pk_fma_f16 v30, v8, v25, v33 op_sel:[0,0,1] op_sel_hi:[1,1,0]
	v_pk_fma_f16 v8, v8, v25, v33 op_sel:[0,0,1] op_sel_hi:[1,0,0] neg_lo:[0,0,1] neg_hi:[0,0,1]
	;; [unrolled: 2-line block ×7, first 2 shown]
	v_bfi_b32 v9, 0xffff, v27, v9
	v_bfi_b32 v10, 0xffff, v26, v10
	;; [unrolled: 1-line block ×7, first 2 shown]
	v_pk_add_f16 v11, v32, v11 neg_lo:[0,1] neg_hi:[0,1]
	v_pk_add_f16 v9, v14, v9 neg_lo:[0,1] neg_hi:[0,1]
	;; [unrolled: 1-line block ×7, first 2 shown]
	v_pk_fma_f16 v25, v32, 2.0, v11 op_sel_hi:[1,0,1] neg_lo:[0,0,1] neg_hi:[0,0,1]
	v_pk_fma_f16 v13, v13, 2.0, v12 op_sel_hi:[1,0,1] neg_lo:[0,0,1] neg_hi:[0,0,1]
	;; [unrolled: 1-line block ×7, first 2 shown]
	ds_write2_b32 v6, v25, v11 offset1:13
	ds_write2_b32 v6, v13, v12 offset0:26 offset1:39
	ds_write2_b32 v23, v14, v9 offset0:52 offset1:65
	;; [unrolled: 1-line block ×6, first 2 shown]
	s_waitcnt lgkmcnt(0)
	s_barrier
	buffer_gl0_inv
	s_and_saveexec_b32 s0, vcc_lo
	s_cbranch_execz .LBB0_19
; %bb.18:
	v_mul_u32_u24_e32 v7, 6, v5
	v_add_nc_u32_e32 v12, 13, v5
	v_mul_hi_u32 v34, 0x4ec4ec4f, v5
	v_mul_lo_u32 v31, s5, v3
	v_mul_lo_u32 v32, s4, v4
	v_lshlrev_b32_e32 v11, 2, v7
	v_mad_u64_u32 v[3:4], null, s4, v3, 0
	v_add_nc_u32_e32 v33, 13, v5
	s_clause 0x1
	global_load_dwordx4 v[7:10], v11, s[12:13] offset:52
	global_load_dwordx2 v[15:16], v11, s[12:13] offset:68
	v_mul_u32_u24_e32 v11, 6, v12
	v_mul_hi_u32 v35, 0x4ec4ec4f, v33
	v_add3_u32 v4, v4, v32, v31
	v_lshlrev_b32_e32 v17, 2, v11
	s_clause 0x1
	global_load_dwordx4 v[11:14], v17, s[12:13] offset:52
	global_load_dwordx2 v[17:18], v17, s[12:13] offset:68
	ds_read2_b32 v[19:20], v6 offset0:39 offset1:52
	ds_read2_b32 v[21:22], v6 offset0:117 offset1:130
	;; [unrolled: 1-line block ×3, first 2 shown]
	ds_read_b32 v50, v6 offset:676
	ds_read2_b32 v[25:26], v6 offset0:65 offset1:78
	ds_read2_b32 v[27:28], v6 offset0:143 offset1:156
	;; [unrolled: 1-line block ×3, first 2 shown]
	v_lshrrev_b32_e32 v6, 3, v34
	ds_read_b32 v51, v0
	v_lshlrev_b64 v[0:1], 2, v[1:2]
	v_lshlrev_b64 v[3:4], 2, v[3:4]
	v_lshrrev_b32_e32 v39, 3, v35
	v_mul_lo_u32 v2, v6, 26
	v_add_co_u32 v3, vcc_lo, s10, v3
	v_mul_lo_u32 v6, v39, 26
	v_add_co_ci_u32_e32 v4, vcc_lo, s11, v4, vcc_lo
	v_sub_nc_u32_e32 v41, v5, v2
	v_add_co_u32 v64, vcc_lo, v3, v0
	v_add_co_ci_u32_e32 v65, vcc_lo, v4, v1, vcc_lo
	v_add_nc_u32_e32 v42, 26, v41
	v_add_nc_u32_e32 v44, 52, v41
	;; [unrolled: 1-line block ×4, first 2 shown]
	v_mad_u64_u32 v[0:1], null, s2, v41, 0
	v_mad_u64_u32 v[3:4], null, s2, v42, 0
	v_add_nc_u32_e32 v47, 0x82, v41
	v_add_nc_u32_e32 v48, 0x9c, v41
	v_sub_nc_u32_e32 v2, v33, v6
	v_mad_u64_u32 v[5:6], null, s2, v44, 0
	v_mad_u64_u32 v[31:32], null, s2, v45, 0
	;; [unrolled: 1-line block ×7, first 2 shown]
	v_mov_b32_e32 v2, v4
	v_mov_b32_e32 v4, v6
	;; [unrolled: 1-line block ×6, first 2 shown]
	v_mad_u64_u32 v[40:41], null, s2, v39, 0
	v_mad_u64_u32 v[42:43], null, s3, v42, v[2:3]
	v_add_nc_u32_e32 v66, 26, v39
	v_mad_u64_u32 v[43:44], null, s3, v44, v[4:5]
	v_lshlrev_b64 v[0:1], 2, v[0:1]
	v_mov_b32_e32 v2, v41
	s_waitcnt lgkmcnt(1)
	v_lshrrev_b32_e32 v58, 16, v30
	v_mov_b32_e32 v4, v42
	v_lshrrev_b32_e32 v59, 16, v28
	v_lshrrev_b32_e32 v62, 16, v20
	v_mad_u64_u32 v[41:42], null, s3, v39, v[2:3]
	v_lshlrev_b64 v[3:4], 2, v[3:4]
	v_add_co_u32 v0, vcc_lo, v64, v0
	v_add_co_ci_u32_e32 v1, vcc_lo, v65, v1, vcc_lo
	v_lshrrev_b32_e32 v63, 16, v22
	v_lshrrev_b32_e32 v52, 16, v19
	;; [unrolled: 1-line block ×9, first 2 shown]
	v_lshlrev_b64 v[40:41], 2, v[40:41]
	v_add_nc_u32_e32 v67, 52, v39
	s_waitcnt vmcnt(3)
	v_mad_u64_u32 v[44:45], null, s3, v45, v[6:7]
	v_mad_u64_u32 v[45:46], null, s3, v46, v[32:33]
	;; [unrolled: 1-line block ×5, first 2 shown]
	v_mov_b32_e32 v6, v43
	v_mov_b32_e32 v34, v45
	v_mov_b32_e32 v36, v46
	v_mul_f16_sdwa v45, v8, v62 dst_sel:DWORD dst_unused:UNUSED_PAD src0_sel:WORD_1 src1_sel:DWORD
	v_mov_b32_e32 v38, v47
	v_lshlrev_b64 v[5:6], 2, v[5:6]
	v_mov_b32_e32 v2, v49
	s_waitcnt vmcnt(2)
	v_mul_f16_sdwa v46, v15, v63 dst_sel:DWORD dst_unused:UNUSED_PAD src0_sel:WORD_1 src1_sel:DWORD
	v_mul_f16_sdwa v47, v28, v16 dst_sel:DWORD dst_unused:UNUSED_PAD src0_sel:DWORD src1_sel:WORD_1
	v_mul_f16_sdwa v70, v15, v22 dst_sel:DWORD dst_unused:UNUSED_PAD src0_sel:WORD_1 src1_sel:DWORD
	v_mul_f16_sdwa v71, v8, v20 dst_sel:DWORD dst_unused:UNUSED_PAD src0_sel:WORD_1 src1_sel:DWORD
	v_mad_u64_u32 v[42:43], null, s3, v66, v[2:3]
	v_add_co_u32 v2, vcc_lo, v64, v3
	v_add_co_ci_u32_e32 v3, vcc_lo, v65, v4, vcc_lo
	v_add_co_u32 v4, vcc_lo, v64, v5
	v_add_co_ci_u32_e32 v5, vcc_lo, v65, v6, vcc_lo
	v_mov_b32_e32 v49, v42
	v_mul_f16_sdwa v6, v7, v58 dst_sel:DWORD dst_unused:UNUSED_PAD src0_sel:WORD_1 src1_sel:DWORD
	v_mul_f16_sdwa v42, v16, v59 dst_sel:DWORD dst_unused:UNUSED_PAD src0_sel:WORD_1 src1_sel:DWORD
	;; [unrolled: 1-line block ×3, first 2 shown]
	v_mov_b32_e32 v32, v44
	v_mul_f16_sdwa v43, v10, v60 dst_sel:DWORD dst_unused:UNUSED_PAD src0_sel:WORD_1 src1_sel:DWORD
	v_mul_f16_sdwa v44, v9, v61 dst_sel:DWORD dst_unused:UNUSED_PAD src0_sel:WORD_1 src1_sel:DWORD
	;; [unrolled: 1-line block ×4, first 2 shown]
	s_waitcnt vmcnt(1)
	v_mul_f16_sdwa v72, v11, v52 dst_sel:DWORD dst_unused:UNUSED_PAD src0_sel:WORD_1 src1_sel:DWORD
	s_waitcnt vmcnt(0)
	v_mul_f16_sdwa v73, v18, v53 dst_sel:DWORD dst_unused:UNUSED_PAD src0_sel:WORD_1 src1_sel:DWORD
	v_mul_f16_sdwa v74, v14, v54 dst_sel:DWORD dst_unused:UNUSED_PAD src0_sel:WORD_1 src1_sel:DWORD
	;; [unrolled: 1-line block ×5, first 2 shown]
	v_mul_f16_sdwa v78, v50, v18 dst_sel:DWORD dst_unused:UNUSED_PAD src0_sel:DWORD src1_sel:WORD_1
	v_mul_f16_sdwa v79, v19, v11 dst_sel:DWORD dst_unused:UNUSED_PAD src0_sel:DWORD src1_sel:WORD_1
	;; [unrolled: 1-line block ×6, first 2 shown]
	v_fmac_f16_e32 v6, v7, v30
	v_fmac_f16_e32 v42, v16, v28
	;; [unrolled: 1-line block ×4, first 2 shown]
	v_fma_f16 v16, v16, v59, -v47
	v_fma_f16 v7, v7, v58, -v66
	;; [unrolled: 1-line block ×4, first 2 shown]
	v_fmac_f16_e32 v43, v10, v24
	v_fmac_f16_e32 v44, v9, v26
	v_fma_f16 v9, v9, v61, -v68
	v_fma_f16 v10, v10, v60, -v69
	v_fmac_f16_e32 v72, v11, v19
	v_fmac_f16_e32 v73, v18, v50
	;; [unrolled: 1-line block ×6, first 2 shown]
	v_fma_f16 v18, v18, v53, -v78
	v_fma_f16 v11, v11, v52, -v79
	;; [unrolled: 1-line block ×6, first 2 shown]
	v_sub_f16_e32 v19, v6, v42
	v_add_f16_e32 v22, v7, v16
	v_add_f16_e32 v24, v8, v15
	;; [unrolled: 1-line block ×4, first 2 shown]
	v_sub_f16_e32 v20, v43, v44
	v_sub_f16_e32 v21, v45, v46
	v_add_f16_e32 v23, v10, v9
	v_add_f16_e32 v25, v43, v44
	v_sub_f16_e32 v7, v7, v16
	v_sub_f16_e32 v9, v10, v9
	;; [unrolled: 1-line block ×6, first 2 shown]
	v_add_f16_e32 v27, v11, v18
	v_add_f16_e32 v28, v14, v13
	;; [unrolled: 1-line block ×6, first 2 shown]
	v_sub_f16_e32 v11, v11, v18
	v_sub_f16_e32 v13, v14, v13
	v_sub_f16_e32 v12, v12, v17
	v_add_f16_e32 v46, v22, v24
	v_add_f16_e32 v52, v6, v26
	v_sub_f16_e32 v14, v19, v20
	v_sub_f16_e32 v17, v20, v21
	v_add_f16_e32 v18, v20, v21
	v_sub_f16_e32 v20, v22, v23
	v_sub_f16_e32 v45, v23, v24
	;; [unrolled: 1-line block ×6, first 2 shown]
	v_add_f16_e32 v9, v9, v8
	v_sub_f16_e32 v21, v21, v19
	v_sub_f16_e32 v22, v24, v22
	;; [unrolled: 1-line block ×6, first 2 shown]
	v_add_f16_e32 v15, v15, v16
	v_sub_f16_e32 v56, v28, v30
	v_add_f16_e32 v57, v27, v30
	v_sub_f16_e32 v59, v43, v44
	;; [unrolled: 2-line block ×3, first 2 shown]
	v_sub_f16_e32 v62, v13, v12
	v_add_f16_e32 v13, v13, v12
	v_sub_f16_e32 v16, v16, v10
	v_sub_f16_e32 v12, v12, v11
	v_add_f16_e32 v23, v23, v46
	v_add_f16_e32 v25, v25, v52
	v_sub_f16_e32 v55, v27, v28
	v_sub_f16_e32 v58, v42, v43
	;; [unrolled: 1-line block ×4, first 2 shown]
	v_mul_f16_e32 v17, 0x3846, v17
	v_add_f16_e32 v18, v19, v18
	v_mul_f16_e32 v19, 0x3a52, v20
	v_mul_f16_e32 v42, 0x2b26, v45
	;; [unrolled: 1-line block ×5, first 2 shown]
	v_add_f16_e32 v7, v7, v9
	v_mul_f16_e32 v9, 0xbb00, v21
	v_mul_f16_e32 v50, 0xbb00, v8
	;; [unrolled: 1-line block ×4, first 2 shown]
	v_add_f16_e32 v28, v28, v57
	v_mul_f16_e32 v56, 0x2b26, v59
	v_add_f16_e32 v43, v43, v60
	v_mul_f16_e32 v57, 0x3846, v62
	;; [unrolled: 2-line block ×3, first 2 shown]
	v_mul_f16_e32 v59, 0xbb00, v12
	s_waitcnt lgkmcnt(0)
	v_add_f16_sdwa v62, v23, v51 dst_sel:DWORD dst_unused:UNUSED_PAD src0_sel:DWORD src1_sel:WORD_1
	v_add_f16_e32 v51, v25, v51
	v_lshlrev_b64 v[31:32], 2, v[31:32]
	v_add_f16_e32 v10, v10, v15
	v_mul_f16_e32 v15, 0x3a52, v55
	v_mul_f16_e32 v54, 0x3a52, v58
	v_fmamk_f16 v60, v14, 0xb574, v17
	v_fmamk_f16 v20, v20, 0x3a52, v42
	;; [unrolled: 1-line block ×4, first 2 shown]
	v_fma_f16 v9, v14, 0x3574, -v9
	v_fma_f16 v14, v22, 0xb9e0, -v19
	;; [unrolled: 1-line block ×7, first 2 shown]
	v_fmamk_f16 v21, v24, 0xb574, v26
	v_add_f16_sdwa v45, v28, v29 dst_sel:DWORD dst_unused:UNUSED_PAD src0_sel:DWORD src1_sel:WORD_1
	v_add_f16_e32 v29, v43, v29
	v_fmamk_f16 v50, v61, 0xb574, v57
	v_fma_f16 v13, v24, 0x3574, -v13
	v_fma_f16 v53, v61, 0x3574, -v59
	v_fma_f16 v16, v16, 0xbb00, -v26
	v_fma_f16 v12, v12, 0xbb00, -v57
	v_fmamk_f16 v23, v23, 0xbcab, v62
	v_fmamk_f16 v25, v25, 0xbcab, v51
	v_fma_f16 v22, v22, 0x39e0, -v42
	v_lshlrev_b64 v[33:34], 2, v[33:34]
	v_fmamk_f16 v42, v55, 0x3a52, v52
	v_fma_f16 v15, v27, 0xb9e0, -v15
	v_fma_f16 v24, v30, 0xb9e0, -v54
	;; [unrolled: 1-line block ×4, first 2 shown]
	v_fmac_f16_e32 v60, 0xb70e, v18
	v_fmac_f16_e32 v63, 0xb70e, v7
	;; [unrolled: 1-line block ×6, first 2 shown]
	v_pack_b32_f16 v7, v51, v62
	v_fmac_f16_e32 v21, 0xb70e, v10
	v_fmamk_f16 v18, v28, 0xbcab, v45
	v_fmamk_f16 v28, v43, 0xbcab, v29
	v_fmac_f16_e32 v50, 0xb70e, v11
	v_fmac_f16_e32 v13, 0xb70e, v10
	;; [unrolled: 1-line block ×5, first 2 shown]
	v_add_f16_e32 v10, v20, v23
	v_add_f16_e32 v11, v47, v25
	v_lshlrev_b64 v[35:36], 2, v[35:36]
	v_add_co_u32 v31, vcc_lo, v64, v31
	v_fmamk_f16 v46, v58, 0x3a52, v56
	v_add_f16_e32 v14, v14, v23
	v_add_f16_e32 v19, v19, v25
	v_add_f16_e32 v6, v6, v25
	v_add_f16_e32 v20, v22, v23
	v_add_co_ci_u32_e32 v32, vcc_lo, v65, v32, vcc_lo
	v_lshlrev_b64 v[37:38], 2, v[37:38]
	v_add_co_u32 v33, vcc_lo, v64, v33
	global_store_dword v[0:1], v7, off
	v_add_f16_e32 v1, v42, v18
	v_add_f16_e32 v15, v15, v18
	;; [unrolled: 1-line block ×6, first 2 shown]
	v_sub_f16_e32 v25, v11, v63
	v_sub_f16_e32 v10, v10, v60
	v_add_f16_e32 v11, v63, v11
	v_add_co_ci_u32_e32 v34, vcc_lo, v65, v34, vcc_lo
	v_pack_b32_f16 v0, v29, v45
	v_add_f16_e32 v7, v46, v28
	v_add_f16_e32 v26, v9, v14
	;; [unrolled: 1-line block ×3, first 2 shown]
	v_sub_f16_e32 v6, v6, v8
	v_sub_f16_e32 v8, v14, v9
	v_add_f16_e32 v9, v44, v19
	v_add_co_u32 v35, vcc_lo, v64, v35
	v_sub_f16_e32 v28, v20, v17
	v_add_f16_e32 v17, v17, v20
	v_add_co_ci_u32_e32 v36, vcc_lo, v65, v36, vcc_lo
	v_sub_f16_e32 v27, v19, v44
	v_add_co_u32 v37, vcc_lo, v64, v37
	v_add_f16_e32 v14, v21, v1
	v_add_f16_e32 v20, v13, v15
	v_sub_f16_e32 v42, v18, v16
	v_add_f16_e32 v43, v12, v23
	v_add_f16_e32 v16, v16, v18
	v_sub_f16_e32 v18, v23, v12
	v_sub_f16_e32 v12, v15, v13
	;; [unrolled: 1-line block ×3, first 2 shown]
	v_pack_b32_f16 v1, v11, v10
	v_sub_f16_e32 v19, v7, v50
	v_add_f16_e32 v21, v50, v7
	v_pack_b32_f16 v7, v9, v8
	v_add_co_ci_u32_e32 v38, vcc_lo, v65, v38, vcc_lo
	v_pack_b32_f16 v6, v6, v17
	v_add_co_u32 v40, vcc_lo, v64, v40
	v_pack_b32_f16 v8, v29, v28
	v_pack_b32_f16 v9, v27, v26
	;; [unrolled: 1-line block ×3, first 2 shown]
	v_add_co_ci_u32_e32 v41, vcc_lo, v65, v41, vcc_lo
	global_store_dword v[2:3], v1, off
	global_store_dword v[4:5], v7, off
	;; [unrolled: 1-line block ×7, first 2 shown]
	v_add_nc_u32_e32 v10, 0x4e, v39
	v_add_nc_u32_e32 v17, 0x68, v39
	v_mad_u64_u32 v[2:3], null, s2, v67, 0
	v_lshlrev_b64 v[0:1], 2, v[48:49]
	v_mad_u64_u32 v[4:5], null, s2, v10, 0
	v_mad_u64_u32 v[6:7], null, s2, v17, 0
	v_pack_b32_f16 v15, v21, v15
	v_add_co_u32 v0, vcc_lo, v64, v0
	v_add_nc_u32_e32 v21, 0x82, v39
	v_mad_u64_u32 v[8:9], null, s3, v67, v[3:4]
	v_add_co_ci_u32_e32 v1, vcc_lo, v65, v1, vcc_lo
	v_mad_u64_u32 v[9:10], null, s3, v10, v[5:6]
	v_mov_b32_e32 v5, v7
	v_mad_u64_u32 v[10:11], null, s2, v21, 0
	global_store_dword v[0:1], v15, off
	v_add_nc_u32_e32 v15, 0x9c, v39
	v_mov_b32_e32 v3, v8
	v_mad_u64_u32 v[7:8], null, s3, v17, v[5:6]
	v_mov_b32_e32 v5, v9
	v_mad_u64_u32 v[8:9], null, s2, v15, 0
	v_lshlrev_b64 v[0:1], 2, v[2:3]
	v_mov_b32_e32 v2, v11
	v_lshlrev_b64 v[4:5], 2, v[4:5]
	v_add_f16_e32 v13, v53, v22
	v_lshlrev_b64 v[6:7], 2, v[6:7]
	v_sub_f16_e32 v30, v22, v53
	v_mad_u64_u32 v[2:3], null, s3, v21, v[2:3]
	v_mov_b32_e32 v3, v9
	v_pack_b32_f16 v17, v13, v12
	v_add_co_u32 v0, vcc_lo, v64, v0
	v_add_co_ci_u32_e32 v1, vcc_lo, v65, v1, vcc_lo
	v_mad_u64_u32 v[12:13], null, s3, v15, v[3:4]
	v_mov_b32_e32 v11, v2
	v_add_co_u32 v2, vcc_lo, v64, v4
	v_add_co_ci_u32_e32 v3, vcc_lo, v65, v5, vcc_lo
	v_lshlrev_b64 v[4:5], 2, v[10:11]
	v_mov_b32_e32 v9, v12
	v_add_co_u32 v6, vcc_lo, v64, v6
	v_add_co_ci_u32_e32 v7, vcc_lo, v65, v7, vcc_lo
	v_lshlrev_b64 v[8:9], 2, v[8:9]
	v_add_co_u32 v4, vcc_lo, v64, v4
	v_pack_b32_f16 v13, v18, v16
	v_add_co_ci_u32_e32 v5, vcc_lo, v65, v5, vcc_lo
	v_pack_b32_f16 v10, v43, v42
	v_add_co_u32 v8, vcc_lo, v64, v8
	v_pack_b32_f16 v11, v30, v20
	v_add_co_ci_u32_e32 v9, vcc_lo, v65, v9, vcc_lo
	v_pack_b32_f16 v12, v19, v14
	global_store_dword v[0:1], v17, off
	global_store_dword v[2:3], v13, off
	;; [unrolled: 1-line block ×5, first 2 shown]
.LBB0_19:
	s_endpgm
	.section	.rodata,"a",@progbits
	.p2align	6, 0x0
	.amdhsa_kernel fft_rtc_back_len182_factors_13_2_7_wgs_52_tpt_13_half_op_CI_CI_sbrr_dirReg
		.amdhsa_group_segment_fixed_size 0
		.amdhsa_private_segment_fixed_size 0
		.amdhsa_kernarg_size 104
		.amdhsa_user_sgpr_count 6
		.amdhsa_user_sgpr_private_segment_buffer 1
		.amdhsa_user_sgpr_dispatch_ptr 0
		.amdhsa_user_sgpr_queue_ptr 0
		.amdhsa_user_sgpr_kernarg_segment_ptr 1
		.amdhsa_user_sgpr_dispatch_id 0
		.amdhsa_user_sgpr_flat_scratch_init 0
		.amdhsa_user_sgpr_private_segment_size 0
		.amdhsa_wavefront_size32 1
		.amdhsa_uses_dynamic_stack 0
		.amdhsa_system_sgpr_private_segment_wavefront_offset 0
		.amdhsa_system_sgpr_workgroup_id_x 1
		.amdhsa_system_sgpr_workgroup_id_y 0
		.amdhsa_system_sgpr_workgroup_id_z 0
		.amdhsa_system_sgpr_workgroup_info 0
		.amdhsa_system_vgpr_workitem_id 0
		.amdhsa_next_free_vgpr 98
		.amdhsa_next_free_sgpr 31
		.amdhsa_reserve_vcc 1
		.amdhsa_reserve_flat_scratch 0
		.amdhsa_float_round_mode_32 0
		.amdhsa_float_round_mode_16_64 0
		.amdhsa_float_denorm_mode_32 3
		.amdhsa_float_denorm_mode_16_64 3
		.amdhsa_dx10_clamp 1
		.amdhsa_ieee_mode 1
		.amdhsa_fp16_overflow 0
		.amdhsa_workgroup_processor_mode 1
		.amdhsa_memory_ordered 1
		.amdhsa_forward_progress 0
		.amdhsa_shared_vgpr_count 0
		.amdhsa_exception_fp_ieee_invalid_op 0
		.amdhsa_exception_fp_denorm_src 0
		.amdhsa_exception_fp_ieee_div_zero 0
		.amdhsa_exception_fp_ieee_overflow 0
		.amdhsa_exception_fp_ieee_underflow 0
		.amdhsa_exception_fp_ieee_inexact 0
		.amdhsa_exception_int_div_zero 0
	.end_amdhsa_kernel
	.text
.Lfunc_end0:
	.size	fft_rtc_back_len182_factors_13_2_7_wgs_52_tpt_13_half_op_CI_CI_sbrr_dirReg, .Lfunc_end0-fft_rtc_back_len182_factors_13_2_7_wgs_52_tpt_13_half_op_CI_CI_sbrr_dirReg
                                        ; -- End function
	.section	.AMDGPU.csdata,"",@progbits
; Kernel info:
; codeLenInByte = 12372
; NumSgprs: 33
; NumVgprs: 98
; ScratchSize: 0
; MemoryBound: 0
; FloatMode: 240
; IeeeMode: 1
; LDSByteSize: 0 bytes/workgroup (compile time only)
; SGPRBlocks: 4
; VGPRBlocks: 12
; NumSGPRsForWavesPerEU: 33
; NumVGPRsForWavesPerEU: 98
; Occupancy: 9
; WaveLimiterHint : 1
; COMPUTE_PGM_RSRC2:SCRATCH_EN: 0
; COMPUTE_PGM_RSRC2:USER_SGPR: 6
; COMPUTE_PGM_RSRC2:TRAP_HANDLER: 0
; COMPUTE_PGM_RSRC2:TGID_X_EN: 1
; COMPUTE_PGM_RSRC2:TGID_Y_EN: 0
; COMPUTE_PGM_RSRC2:TGID_Z_EN: 0
; COMPUTE_PGM_RSRC2:TIDIG_COMP_CNT: 0
	.text
	.p2alignl 6, 3214868480
	.fill 48, 4, 3214868480
	.type	__hip_cuid_796bd60ceda588d2,@object ; @__hip_cuid_796bd60ceda588d2
	.section	.bss,"aw",@nobits
	.globl	__hip_cuid_796bd60ceda588d2
__hip_cuid_796bd60ceda588d2:
	.byte	0                               ; 0x0
	.size	__hip_cuid_796bd60ceda588d2, 1

	.ident	"AMD clang version 19.0.0git (https://github.com/RadeonOpenCompute/llvm-project roc-6.4.0 25133 c7fe45cf4b819c5991fe208aaa96edf142730f1d)"
	.section	".note.GNU-stack","",@progbits
	.addrsig
	.addrsig_sym __hip_cuid_796bd60ceda588d2
	.amdgpu_metadata
---
amdhsa.kernels:
  - .args:
      - .actual_access:  read_only
        .address_space:  global
        .offset:         0
        .size:           8
        .value_kind:     global_buffer
      - .offset:         8
        .size:           8
        .value_kind:     by_value
      - .actual_access:  read_only
        .address_space:  global
        .offset:         16
        .size:           8
        .value_kind:     global_buffer
      - .actual_access:  read_only
        .address_space:  global
        .offset:         24
        .size:           8
        .value_kind:     global_buffer
      - .actual_access:  read_only
        .address_space:  global
        .offset:         32
        .size:           8
        .value_kind:     global_buffer
      - .offset:         40
        .size:           8
        .value_kind:     by_value
      - .actual_access:  read_only
        .address_space:  global
        .offset:         48
        .size:           8
        .value_kind:     global_buffer
      - .actual_access:  read_only
        .address_space:  global
        .offset:         56
        .size:           8
        .value_kind:     global_buffer
      - .offset:         64
        .size:           4
        .value_kind:     by_value
      - .actual_access:  read_only
        .address_space:  global
        .offset:         72
        .size:           8
        .value_kind:     global_buffer
      - .actual_access:  read_only
        .address_space:  global
        .offset:         80
        .size:           8
        .value_kind:     global_buffer
      - .actual_access:  read_only
        .address_space:  global
        .offset:         88
        .size:           8
        .value_kind:     global_buffer
      - .actual_access:  write_only
        .address_space:  global
        .offset:         96
        .size:           8
        .value_kind:     global_buffer
    .group_segment_fixed_size: 0
    .kernarg_segment_align: 8
    .kernarg_segment_size: 104
    .language:       OpenCL C
    .language_version:
      - 2
      - 0
    .max_flat_workgroup_size: 52
    .name:           fft_rtc_back_len182_factors_13_2_7_wgs_52_tpt_13_half_op_CI_CI_sbrr_dirReg
    .private_segment_fixed_size: 0
    .sgpr_count:     33
    .sgpr_spill_count: 0
    .symbol:         fft_rtc_back_len182_factors_13_2_7_wgs_52_tpt_13_half_op_CI_CI_sbrr_dirReg.kd
    .uniform_work_group_size: 1
    .uses_dynamic_stack: false
    .vgpr_count:     98
    .vgpr_spill_count: 0
    .wavefront_size: 32
    .workgroup_processor_mode: 1
amdhsa.target:   amdgcn-amd-amdhsa--gfx1030
amdhsa.version:
  - 1
  - 2
...

	.end_amdgpu_metadata
